;; amdgpu-corpus repo=ROCm/rocFFT kind=compiled arch=gfx906 opt=O3
	.text
	.amdgcn_target "amdgcn-amd-amdhsa--gfx906"
	.amdhsa_code_object_version 6
	.protected	bluestein_single_fwd_len1350_dim1_sp_op_CI_CI ; -- Begin function bluestein_single_fwd_len1350_dim1_sp_op_CI_CI
	.globl	bluestein_single_fwd_len1350_dim1_sp_op_CI_CI
	.p2align	8
	.type	bluestein_single_fwd_len1350_dim1_sp_op_CI_CI,@function
bluestein_single_fwd_len1350_dim1_sp_op_CI_CI: ; @bluestein_single_fwd_len1350_dim1_sp_op_CI_CI
; %bb.0:
	s_load_dwordx4 s[16:19], s[4:5], 0x28
	v_mul_u32_u24_e32 v1, 0x1e6, v0
	v_add_u32_sdwa v80, s6, v1 dst_sel:DWORD dst_unused:UNUSED_PAD src0_sel:DWORD src1_sel:WORD_1
	v_mov_b32_e32 v81, 0
	s_waitcnt lgkmcnt(0)
	v_cmp_gt_u64_e32 vcc, s[16:17], v[80:81]
	s_and_saveexec_b64 s[0:1], vcc
	s_cbranch_execz .LBB0_26
; %bb.1:
	s_load_dwordx4 s[0:3], s[4:5], 0x18
	s_load_dwordx4 s[12:15], s[4:5], 0x0
	s_waitcnt lgkmcnt(0)
	s_load_dwordx4 s[8:11], s[0:1], 0x0
	s_movk_i32 s0, 0x87
	v_mul_lo_u16_sdwa v1, v1, s0 dst_sel:DWORD dst_unused:UNUSED_PAD src0_sel:WORD_1 src1_sel:DWORD
	v_sub_u16_e32 v116, v0, v1
	v_lshlrev_b32_e32 v115, 3, v116
	s_waitcnt lgkmcnt(0)
	v_mad_u64_u32 v[0:1], s[6:7], s10, v80, 0
	v_mad_u64_u32 v[2:3], s[6:7], s8, v116, 0
	s_mul_i32 s1, s9, 0x870
	global_load_dwordx2 v[89:90], v115, s[12:13]
	global_load_dwordx2 v[85:86], v115, s[12:13] offset:2160
	v_mad_u64_u32 v[4:5], s[6:7], s11, v80, v[1:2]
	v_mad_u64_u32 v[5:6], s[6:7], s9, v116, v[3:4]
	v_mov_b32_e32 v1, v4
	v_lshlrev_b64 v[0:1], 3, v[0:1]
	v_mov_b32_e32 v6, s19
	v_mov_b32_e32 v3, v5
	v_add_co_u32_e32 v4, vcc, s18, v0
	v_addc_co_u32_e32 v5, vcc, v6, v1, vcc
	v_lshlrev_b64 v[0:1], 3, v[2:3]
	v_mov_b32_e32 v2, s13
	v_add_co_u32_e32 v0, vcc, v4, v0
	v_addc_co_u32_e32 v1, vcc, v5, v1, vcc
	v_add_co_u32_e32 v16, vcc, s12, v115
	s_mul_hi_u32 s6, s8, 0x870
	v_addc_co_u32_e32 v17, vcc, 0, v2, vcc
	s_add_i32 s1, s6, s1
	s_mul_i32 s6, s8, 0x870
	v_mov_b32_e32 v3, s1
	v_add_co_u32_e32 v2, vcc, s6, v0
	v_addc_co_u32_e32 v3, vcc, v1, v3, vcc
	v_mov_b32_e32 v5, s1
	v_add_co_u32_e32 v4, vcc, s6, v2
	v_addc_co_u32_e32 v5, vcc, v3, v5, vcc
	s_movk_i32 s7, 0x1000
	global_load_dwordx2 v[6:7], v[0:1], off
	global_load_dwordx2 v[8:9], v[2:3], off
	;; [unrolled: 1-line block ×3, first 2 shown]
	v_add_co_u32_e32 v0, vcc, s7, v16
	v_addc_co_u32_e32 v1, vcc, 0, v17, vcc
	v_mov_b32_e32 v3, s1
	v_add_co_u32_e32 v2, vcc, s6, v4
	v_addc_co_u32_e32 v3, vcc, v5, v3, vcc
	v_mov_b32_e32 v5, s1
	v_add_co_u32_e32 v4, vcc, s6, v2
	v_addc_co_u32_e32 v5, vcc, v3, v5, vcc
	s_movk_i32 s7, 0x2000
	global_load_dwordx2 v[83:84], v[0:1], off offset:224
	global_load_dwordx2 v[81:82], v[0:1], off offset:2384
	global_load_dwordx2 v[12:13], v[2:3], off
	global_load_dwordx2 v[14:15], v[4:5], off
	v_add_co_u32_e32 v2, vcc, s7, v16
	v_mov_b32_e32 v16, 0xffffe278
	v_mad_u64_u32 v[4:5], s[10:11], s8, v16, v[4:5]
	v_addc_co_u32_e32 v3, vcc, 0, v17, vcc
	s_mul_i32 s7, s9, 0xffffe278
	global_load_dwordx2 v[91:92], v[2:3], off offset:448
	s_sub_i32 s7, s7, s8
	v_add_u32_e32 v5, s7, v5
	global_load_dwordx2 v[16:17], v[4:5], off
	global_load_dwordx2 v[87:88], v115, s[12:13] offset:3240
	global_load_dwordx2 v[93:94], v115, s[12:13] offset:1080
	v_mov_b32_e32 v18, s1
	v_add_co_u32_e32 v4, vcc, s6, v4
	v_addc_co_u32_e32 v5, vcc, v5, v18, vcc
	global_load_dwordx2 v[18:19], v[4:5], off
	v_mov_b32_e32 v20, s1
	v_add_co_u32_e32 v4, vcc, s6, v4
	v_addc_co_u32_e32 v5, vcc, v5, v20, vcc
	global_load_dwordx2 v[20:21], v[4:5], off
	global_load_dwordx2 v[95:96], v[0:1], off offset:3464
	global_load_dwordx2 v[99:100], v[0:1], off offset:1304
	v_mov_b32_e32 v1, s1
	v_add_co_u32_e32 v0, vcc, s6, v4
	v_addc_co_u32_e32 v1, vcc, v5, v1, vcc
	global_load_dwordx2 v[4:5], v[0:1], off
	v_mov_b32_e32 v22, s1
	v_add_co_u32_e32 v0, vcc, s6, v0
	v_addc_co_u32_e32 v1, vcc, v1, v22, vcc
	global_load_dwordx2 v[22:23], v[0:1], off
	global_load_dwordx2 v[97:98], v[2:3], off offset:1528
	s_load_dwordx4 s[8:11], s[2:3], 0x0
	v_add_co_u32_e32 v119, vcc, s0, v116
	v_addc_co_u32_e64 v70, s[0:1], 0, 0, vcc
	s_movk_i32 s0, 0xcd
	s_mov_b32 s3, 0x3f737871
	s_mov_b32 s2, 0x3f167918
	s_load_dwordx2 s[6:7], s[4:5], 0x38
	s_waitcnt vmcnt(17)
	v_mul_f32_e32 v0, v7, v90
	s_waitcnt vmcnt(16)
	v_mul_f32_e32 v2, v9, v86
	v_mul_f32_e32 v3, v8, v86
	v_fmac_f32_e32 v2, v8, v85
	v_fma_f32 v3, v9, v85, -v3
	ds_write_b64 v115, v[2:3] offset:2160
	v_mul_f32_e32 v1, v6, v90
	v_fmac_f32_e32 v0, v6, v89
	v_fma_f32 v1, v7, v89, -v1
	s_waitcnt vmcnt(14)
	v_mul_f32_e32 v2, v11, v84
	v_mul_f32_e32 v3, v10, v84
	v_fmac_f32_e32 v2, v10, v83
	v_fma_f32 v3, v11, v83, -v3
	ds_write_b64 v115, v[2:3] offset:4320
	s_waitcnt vmcnt(12)
	v_mul_f32_e32 v2, v13, v82
	v_mul_f32_e32 v3, v12, v82
	v_fmac_f32_e32 v2, v12, v81
	v_fma_f32 v3, v13, v81, -v3
	ds_write_b64 v115, v[2:3] offset:6480
	;; [unrolled: 6-line block ×3, first 2 shown]
	s_waitcnt vmcnt(7)
	v_mul_f32_e32 v2, v17, v94
	v_mul_f32_e32 v3, v16, v94
	v_fmac_f32_e32 v2, v16, v93
	v_fma_f32 v3, v17, v93, -v3
	ds_write2_b64 v115, v[0:1], v[2:3] offset1:135
	s_waitcnt vmcnt(6)
	v_mul_f32_e32 v0, v19, v88
	v_mul_f32_e32 v1, v18, v88
	v_fmac_f32_e32 v0, v18, v87
	v_fma_f32 v1, v19, v87, -v1
	ds_write_b64 v115, v[0:1] offset:3240
	s_waitcnt vmcnt(3)
	v_mul_f32_e32 v0, v21, v100
	v_mul_f32_e32 v1, v20, v100
	v_fmac_f32_e32 v0, v20, v99
	v_fma_f32 v1, v21, v99, -v1
	ds_write_b64 v115, v[0:1] offset:5400
	v_add_u32_e32 v17, 0x1000, v115
	s_waitcnt vmcnt(2)
	v_mul_f32_e32 v0, v5, v96
	v_mul_f32_e32 v1, v4, v96
	v_fmac_f32_e32 v0, v4, v95
	v_fma_f32 v1, v5, v95, -v1
	ds_write_b64 v115, v[0:1] offset:7560
	v_add_u32_e32 v18, 0x1800, v115
	s_waitcnt vmcnt(0)
	v_mul_f32_e32 v0, v23, v98
	v_mul_f32_e32 v1, v22, v98
	v_fmac_f32_e32 v0, v22, v97
	v_fma_f32 v1, v23, v97, -v1
	ds_write_b64 v115, v[0:1] offset:9720
	s_waitcnt lgkmcnt(0)
	s_barrier
	ds_read2_b64 v[8:11], v17 offset0:28 offset1:163
	ds_read2_b64 v[12:15], v18 offset0:42 offset1:177
	ds_read2_b64 v[0:3], v115 offset1:135
	v_add_u32_e32 v16, 0x800, v115
	v_add_u32_e32 v19, 0x2000, v115
	ds_read2_b64 v[4:7], v16 offset0:14 offset1:149
	ds_read2_b64 v[20:23], v19 offset0:56 offset1:191
	s_waitcnt lgkmcnt(3)
	v_add_f32_e32 v25, v8, v12
	s_waitcnt lgkmcnt(2)
	v_fma_f32 v26, -0.5, v25, v0
	v_mov_b32_e32 v28, v26
	v_sub_f32_e32 v27, v9, v13
	s_waitcnt lgkmcnt(0)
	v_sub_f32_e32 v25, v5, v21
	v_fmac_f32_e32 v28, 0x3f737871, v25
	v_sub_f32_e32 v29, v4, v8
	v_sub_f32_e32 v30, v20, v12
	v_fmac_f32_e32 v26, 0xbf737871, v25
	v_fmac_f32_e32 v28, 0x3f167918, v27
	v_add_f32_e32 v29, v29, v30
	v_fmac_f32_e32 v26, 0xbf167918, v27
	v_fmac_f32_e32 v28, 0x3e9e377a, v29
	;; [unrolled: 1-line block ×3, first 2 shown]
	v_add_f32_e32 v29, v4, v20
	v_add_f32_e32 v24, v0, v4
	v_fma_f32 v0, -0.5, v29, v0
	v_mov_b32_e32 v30, v0
	v_fmac_f32_e32 v30, 0xbf737871, v27
	v_sub_f32_e32 v29, v8, v4
	v_sub_f32_e32 v31, v12, v20
	v_fmac_f32_e32 v0, 0x3f737871, v27
	v_add_f32_e32 v27, v9, v13
	v_add_f32_e32 v24, v24, v8
	v_fmac_f32_e32 v30, 0x3f167918, v25
	v_add_f32_e32 v29, v29, v31
	v_fmac_f32_e32 v0, 0xbf167918, v25
	v_fma_f32 v27, -0.5, v27, v1
	v_add_f32_e32 v24, v24, v12
	v_fmac_f32_e32 v30, 0x3e9e377a, v29
	v_fmac_f32_e32 v0, 0x3e9e377a, v29
	v_sub_f32_e32 v4, v4, v20
	v_mov_b32_e32 v29, v27
	v_add_f32_e32 v24, v24, v20
	v_fmac_f32_e32 v29, 0xbf737871, v4
	v_sub_f32_e32 v8, v8, v12
	v_sub_f32_e32 v12, v5, v9
	v_sub_f32_e32 v20, v21, v13
	v_fmac_f32_e32 v27, 0x3f737871, v4
	v_fmac_f32_e32 v29, 0xbf167918, v8
	v_add_f32_e32 v12, v12, v20
	v_fmac_f32_e32 v27, 0x3f167918, v8
	v_fmac_f32_e32 v29, 0x3e9e377a, v12
	;; [unrolled: 1-line block ×3, first 2 shown]
	v_add_f32_e32 v12, v5, v21
	v_add_f32_e32 v25, v1, v5
	v_fma_f32 v1, -0.5, v12, v1
	v_mov_b32_e32 v31, v1
	v_add_f32_e32 v25, v25, v9
	v_fmac_f32_e32 v31, 0x3f737871, v8
	v_sub_f32_e32 v5, v9, v5
	v_sub_f32_e32 v9, v13, v21
	v_fmac_f32_e32 v1, 0xbf737871, v8
	v_fmac_f32_e32 v31, 0xbf167918, v4
	v_add_f32_e32 v5, v5, v9
	v_fmac_f32_e32 v1, 0x3f167918, v4
	v_fmac_f32_e32 v31, 0x3e9e377a, v5
	;; [unrolled: 1-line block ×3, first 2 shown]
	v_add_f32_e32 v5, v10, v14
	v_fma_f32 v8, -0.5, v5, v2
	v_sub_f32_e32 v5, v7, v23
	v_mov_b32_e32 v12, v8
	v_add_f32_e32 v25, v25, v13
	v_fmac_f32_e32 v12, 0x3f737871, v5
	v_sub_f32_e32 v9, v11, v15
	v_sub_f32_e32 v13, v6, v10
	;; [unrolled: 1-line block ×3, first 2 shown]
	v_fmac_f32_e32 v8, 0xbf737871, v5
	v_fmac_f32_e32 v12, 0x3f167918, v9
	v_add_f32_e32 v13, v13, v20
	v_fmac_f32_e32 v8, 0xbf167918, v9
	v_fmac_f32_e32 v12, 0x3e9e377a, v13
	;; [unrolled: 1-line block ×3, first 2 shown]
	v_add_f32_e32 v13, v6, v22
	v_add_f32_e32 v4, v2, v6
	v_fma_f32 v2, -0.5, v13, v2
	v_mov_b32_e32 v20, v2
	v_add_f32_e32 v25, v25, v21
	v_fmac_f32_e32 v20, 0xbf737871, v9
	v_sub_f32_e32 v13, v10, v6
	v_sub_f32_e32 v21, v14, v22
	v_fmac_f32_e32 v2, 0x3f737871, v9
	v_add_f32_e32 v9, v11, v15
	v_fmac_f32_e32 v20, 0x3f167918, v5
	v_add_f32_e32 v13, v13, v21
	v_fmac_f32_e32 v2, 0xbf167918, v5
	v_fma_f32 v9, -0.5, v9, v3
	v_add_f32_e32 v4, v4, v10
	v_fmac_f32_e32 v20, 0x3e9e377a, v13
	v_fmac_f32_e32 v2, 0x3e9e377a, v13
	v_sub_f32_e32 v6, v6, v22
	v_mov_b32_e32 v13, v9
	v_add_f32_e32 v4, v4, v14
	v_fmac_f32_e32 v13, 0xbf737871, v6
	v_sub_f32_e32 v10, v10, v14
	v_sub_f32_e32 v14, v7, v11
	;; [unrolled: 1-line block ×3, first 2 shown]
	v_fmac_f32_e32 v9, 0x3f737871, v6
	v_fmac_f32_e32 v13, 0xbf167918, v10
	v_add_f32_e32 v14, v14, v21
	v_fmac_f32_e32 v9, 0x3f167918, v10
	v_fmac_f32_e32 v13, 0x3e9e377a, v14
	v_fmac_f32_e32 v9, 0x3e9e377a, v14
	v_add_f32_e32 v14, v7, v23
	v_add_f32_e32 v5, v3, v7
	v_fmac_f32_e32 v3, -0.5, v14
	v_mov_b32_e32 v21, v3
	v_fmac_f32_e32 v21, 0x3f737871, v10
	v_fmac_f32_e32 v3, 0xbf737871, v10
	;; [unrolled: 1-line block ×4, first 2 shown]
	v_mul_lo_u16_e32 v6, 5, v116
	v_lshlrev_b32_e32 v117, 3, v6
	s_barrier
	ds_write2_b64 v117, v[24:25], v[28:29] offset1:1
	ds_write2_b64 v117, v[30:31], v[0:1] offset0:2 offset1:3
	ds_write_b64 v117, v[26:27] offset:32
	v_mul_u32_u24_e32 v0, 5, v119
	v_lshlrev_b32_e32 v118, 3, v0
	v_mul_lo_u16_sdwa v0, v116, s0 dst_sel:DWORD dst_unused:UNUSED_PAD src0_sel:BYTE_0 src1_sel:DWORD
	v_lshrrev_b16_e32 v40, 10, v0
	v_mul_lo_u16_e32 v0, 5, v40
	v_add_f32_e32 v5, v5, v11
	v_sub_f32_e32 v7, v11, v7
	v_sub_f32_e32 v11, v15, v23
	v_sub_u16_e32 v0, v116, v0
	v_add_f32_e32 v5, v5, v15
	v_add_f32_e32 v7, v7, v11
	v_and_b32_e32 v41, 0xff, v0
	v_mov_b32_e32 v0, s14
	v_add_f32_e32 v4, v4, v22
	v_add_f32_e32 v5, v5, v23
	v_fmac_f32_e32 v21, 0x3e9e377a, v7
	s_movk_i32 s0, 0x48
	v_mov_b32_e32 v1, s15
	v_fmac_f32_e32 v3, 0x3e9e377a, v7
	ds_write2_b64 v118, v[4:5], v[12:13] offset1:1
	ds_write2_b64 v118, v[20:21], v[2:3] offset0:2 offset1:3
	ds_write_b64 v118, v[8:9] offset:32
	v_mad_u64_u32 v[20:21], s[0:1], v41, s0, v[0:1]
	s_waitcnt lgkmcnt(0)
	s_barrier
	global_load_dwordx4 v[12:15], v[20:21], off
	global_load_dwordx4 v[8:11], v[20:21], off offset:16
	global_load_dwordx4 v[4:7], v[20:21], off offset:32
	;; [unrolled: 1-line block ×3, first 2 shown]
	global_load_dwordx2 v[101:102], v[20:21], off offset:64
	ds_read2_b64 v[20:23], v115 offset1:135
	ds_read2_b64 v[24:27], v16 offset0:14 offset1:149
	ds_read2_b64 v[28:31], v17 offset0:28 offset1:163
	;; [unrolled: 1-line block ×4, first 2 shown]
	s_mov_b32 s1, 0xbf737871
	s_mov_b32 s0, 0xbf167918
	s_waitcnt vmcnt(0) lgkmcnt(0)
	s_barrier
	v_mul_f32_e32 v18, v23, v13
	v_fma_f32 v42, v22, v12, -v18
	v_mul_f32_e32 v18, v25, v15
	v_mul_f32_e32 v19, v24, v15
	;; [unrolled: 1-line block ×3, first 2 shown]
	v_fma_f32 v18, v24, v14, -v18
	v_fmac_f32_e32 v19, v25, v14
	v_mul_f32_e32 v24, v29, v11
	v_mul_f32_e32 v25, v28, v11
	v_fmac_f32_e32 v43, v23, v12
	v_mul_f32_e32 v22, v27, v9
	v_mul_f32_e32 v23, v26, v9
	v_fma_f32 v24, v28, v10, -v24
	v_fmac_f32_e32 v25, v29, v10
	v_mul_f32_e32 v28, v33, v7
	v_mul_f32_e32 v29, v32, v7
	v_fma_f32 v22, v26, v8, -v22
	;; [unrolled: 4-line block ×3, first 2 shown]
	v_fmac_f32_e32 v29, v33, v6
	v_mul_f32_e32 v33, v36, v3
	v_fma_f32 v26, v30, v4, -v26
	v_fmac_f32_e32 v27, v31, v4
	v_mul_f32_e32 v30, v35, v1
	v_mul_f32_e32 v31, v34, v1
	;; [unrolled: 1-line block ×3, first 2 shown]
	v_fmac_f32_e32 v33, v37, v2
	v_add_f32_e32 v37, v24, v28
	v_fma_f32 v30, v34, v0, -v30
	v_fmac_f32_e32 v31, v35, v0
	v_mul_f32_e32 v34, v39, v102
	v_mul_f32_e32 v35, v38, v102
	v_fma_f32 v37, -0.5, v37, v20
	v_fma_f32 v32, v36, v2, -v32
	v_fma_f32 v34, v38, v101, -v34
	v_fmac_f32_e32 v35, v39, v101
	v_sub_f32_e32 v38, v19, v33
	v_mov_b32_e32 v39, v37
	v_fmac_f32_e32 v39, 0x3f737871, v38
	v_sub_f32_e32 v44, v25, v29
	v_sub_f32_e32 v45, v18, v24
	;; [unrolled: 1-line block ×3, first 2 shown]
	v_fmac_f32_e32 v37, 0xbf737871, v38
	v_fmac_f32_e32 v39, 0x3f167918, v44
	v_add_f32_e32 v45, v45, v46
	v_fmac_f32_e32 v37, 0xbf167918, v44
	v_fmac_f32_e32 v39, 0x3e9e377a, v45
	;; [unrolled: 1-line block ×3, first 2 shown]
	v_add_f32_e32 v45, v18, v32
	v_fma_f32 v45, -0.5, v45, v20
	v_mov_b32_e32 v46, v45
	v_add_f32_e32 v36, v20, v18
	v_fmac_f32_e32 v46, 0xbf737871, v44
	v_sub_f32_e32 v20, v24, v18
	v_sub_f32_e32 v47, v28, v32
	v_fmac_f32_e32 v45, 0x3f737871, v44
	v_fmac_f32_e32 v46, 0x3f167918, v38
	v_add_f32_e32 v20, v20, v47
	v_fmac_f32_e32 v45, 0xbf167918, v38
	v_fmac_f32_e32 v46, 0x3e9e377a, v20
	;; [unrolled: 1-line block ×3, first 2 shown]
	v_add_f32_e32 v20, v21, v19
	v_add_f32_e32 v20, v20, v25
	;; [unrolled: 1-line block ×5, first 2 shown]
	v_fma_f32 v44, -0.5, v20, v21
	v_add_f32_e32 v36, v36, v24
	v_sub_f32_e32 v18, v18, v32
	v_mov_b32_e32 v47, v44
	v_add_f32_e32 v36, v36, v28
	v_fmac_f32_e32 v47, 0xbf737871, v18
	v_sub_f32_e32 v20, v24, v28
	v_sub_f32_e32 v24, v19, v25
	;; [unrolled: 1-line block ×3, first 2 shown]
	v_fmac_f32_e32 v44, 0x3f737871, v18
	v_fmac_f32_e32 v47, 0xbf167918, v20
	v_add_f32_e32 v24, v24, v28
	v_fmac_f32_e32 v44, 0x3f167918, v20
	v_fmac_f32_e32 v47, 0x3e9e377a, v24
	;; [unrolled: 1-line block ×3, first 2 shown]
	v_add_f32_e32 v24, v19, v33
	v_fma_f32 v48, -0.5, v24, v21
	v_mov_b32_e32 v49, v48
	v_fmac_f32_e32 v49, 0x3f737871, v20
	v_fmac_f32_e32 v48, 0xbf737871, v20
	;; [unrolled: 1-line block ×4, first 2 shown]
	v_add_f32_e32 v18, v42, v22
	v_add_f32_e32 v18, v18, v26
	;; [unrolled: 1-line block ×5, first 2 shown]
	v_sub_f32_e32 v19, v25, v19
	v_sub_f32_e32 v21, v29, v33
	v_fma_f32 v29, -0.5, v18, v42
	v_add_f32_e32 v19, v19, v21
	v_sub_f32_e32 v18, v23, v35
	v_mov_b32_e32 v21, v29
	v_fmac_f32_e32 v49, 0x3e9e377a, v19
	v_fmac_f32_e32 v48, 0x3e9e377a, v19
	;; [unrolled: 1-line block ×3, first 2 shown]
	v_sub_f32_e32 v19, v27, v31
	v_sub_f32_e32 v20, v22, v26
	;; [unrolled: 1-line block ×3, first 2 shown]
	v_fmac_f32_e32 v29, 0xbf737871, v18
	v_fmac_f32_e32 v21, 0x3f167918, v19
	v_add_f32_e32 v20, v20, v24
	v_fmac_f32_e32 v29, 0xbf167918, v19
	v_fmac_f32_e32 v21, 0x3e9e377a, v20
	;; [unrolled: 1-line block ×3, first 2 shown]
	v_add_f32_e32 v20, v22, v34
	v_fmac_f32_e32 v42, -0.5, v20
	v_mov_b32_e32 v25, v42
	v_fmac_f32_e32 v25, 0xbf737871, v19
	v_fmac_f32_e32 v42, 0x3f737871, v19
	;; [unrolled: 1-line block ×4, first 2 shown]
	v_add_f32_e32 v18, v43, v23
	v_add_f32_e32 v18, v18, v27
	;; [unrolled: 1-line block ×6, first 2 shown]
	v_sub_f32_e32 v20, v26, v22
	v_sub_f32_e32 v24, v30, v34
	v_fma_f32 v32, -0.5, v18, v43
	v_add_f32_e32 v20, v20, v24
	v_sub_f32_e32 v18, v22, v34
	v_mov_b32_e32 v34, v32
	v_fmac_f32_e32 v25, 0x3e9e377a, v20
	v_fmac_f32_e32 v42, 0x3e9e377a, v20
	;; [unrolled: 1-line block ×3, first 2 shown]
	v_sub_f32_e32 v19, v26, v30
	v_sub_f32_e32 v20, v23, v27
	;; [unrolled: 1-line block ×3, first 2 shown]
	v_fmac_f32_e32 v32, 0x3f737871, v18
	v_fmac_f32_e32 v34, 0xbf167918, v19
	v_add_f32_e32 v20, v20, v22
	v_fmac_f32_e32 v32, 0x3f167918, v19
	v_fmac_f32_e32 v34, 0x3e9e377a, v20
	;; [unrolled: 1-line block ×3, first 2 shown]
	v_add_f32_e32 v20, v23, v35
	v_fmac_f32_e32 v43, -0.5, v20
	v_mov_b32_e32 v30, v43
	v_fmac_f32_e32 v30, 0x3f737871, v19
	v_sub_f32_e32 v20, v27, v23
	v_sub_f32_e32 v22, v31, v35
	v_fmac_f32_e32 v30, 0xbf167918, v18
	v_add_f32_e32 v20, v20, v22
	v_fmac_f32_e32 v43, 0xbf737871, v19
	v_fmac_f32_e32 v30, 0x3e9e377a, v20
	;; [unrolled: 1-line block ×4, first 2 shown]
	v_mul_f32_e32 v35, 0x3f737871, v30
	v_mul_f32_e32 v31, 0x3f167918, v34
	v_fmac_f32_e32 v35, 0x3e9e377a, v25
	v_mul_f32_e32 v19, 0x3e9e377a, v42
	v_mul_f32_e32 v52, 0xbf167918, v21
	;; [unrolled: 1-line block ×4, first 2 shown]
	v_add_f32_e32 v18, v36, v28
	v_fmac_f32_e32 v31, 0x3f4f1bbd, v21
	v_fma_f32 v50, v43, s3, -v19
	v_mul_f32_e32 v19, 0x3f4f1bbd, v29
	v_fmac_f32_e32 v52, 0x3f4f1bbd, v34
	v_fmac_f32_e32 v53, 0x3e9e377a, v30
	v_fma_f32 v42, v42, s1, -v25
	v_mul_f32_e32 v27, 0x3f4f1bbd, v32
	v_sub_f32_e32 v28, v36, v28
	v_mul_u32_u24_e32 v36, 50, v40
	v_add_f32_e32 v20, v39, v31
	v_add_f32_e32 v22, v46, v35
	v_fma_f32 v51, v32, s2, -v19
	v_add_f32_e32 v19, v38, v33
	v_add_f32_e32 v21, v47, v52
	v_fma_f32 v43, v29, s0, -v27
	v_sub_f32_e32 v32, v46, v35
	v_sub_f32_e32 v34, v45, v50
	;; [unrolled: 1-line block ×5, first 2 shown]
	v_add_lshl_u32 v120, v36, v41, 3
	v_add_f32_e32 v24, v45, v50
	v_add_f32_e32 v26, v37, v51
	v_add_f32_e32 v23, v49, v53
	v_add_f32_e32 v25, v48, v42
	v_add_f32_e32 v27, v44, v43
	v_sub_f32_e32 v30, v39, v31
	v_sub_f32_e32 v64, v37, v51
	;; [unrolled: 1-line block ×4, first 2 shown]
	ds_write2_b64 v120, v[18:19], v[20:21] offset1:5
	ds_write2_b64 v120, v[22:23], v[24:25] offset0:10 offset1:15
	ds_write2_b64 v120, v[26:27], v[28:29] offset0:20 offset1:25
	ds_write2_b64 v120, v[30:31], v[32:33] offset0:30 offset1:35
	ds_write2_b64 v120, v[34:35], v[64:65] offset0:40 offset1:45
	s_waitcnt lgkmcnt(0)
	s_barrier
	ds_read2_b64 v[36:39], v115 offset1:135
	ds_read2_b64 v[32:35], v16 offset0:14 offset1:194
	v_add_u32_e32 v16, 0x1c00, v115
	ds_read2_b64 v[44:47], v16 offset0:4 offset1:139
	ds_read2_b64 v[40:43], v17 offset0:73 offset1:208
	ds_read_b64 v[48:49], v115 offset:9360
	v_cmp_gt_u16_e64 s[0:1], 45, v116
                                        ; implicit-def: $vgpr50
                                        ; implicit-def: $vgpr52
	s_and_saveexec_b64 s[2:3], s[0:1]
	s_cbranch_execz .LBB0_3
; %bb.2:
	ds_read_b64 v[64:65], v115 offset:3240
	ds_read_b64 v[50:51], v115 offset:6840
	;; [unrolled: 1-line block ×3, first 2 shown]
.LBB0_3:
	s_or_b64 exec, exec, s[2:3]
	v_lshrrev_b16_e32 v20, 1, v119
	v_add_co_u32_e32 v103, vcc, 0x10e, v116
	v_mul_u32_u24_e32 v20, 0x147b, v20
	v_mov_b32_e32 v16, 41
	v_lshrrev_b32_e32 v56, 17, v20
	v_lshrrev_b16_e32 v71, 1, v103
	s_mov_b64 s[2:3], vcc
	v_add_co_u32_e32 v128, vcc, 0x195, v116
	v_mul_lo_u16_sdwa v16, v116, v16 dst_sel:DWORD dst_unused:UNUSED_PAD src0_sel:BYTE_0 src1_sel:DWORD
	v_mul_lo_u16_e32 v20, 50, v56
	v_mul_u32_u24_e32 v24, 0x147b, v71
	v_lshrrev_b16_e32 v54, 11, v16
	v_sub_u16_e32 v57, v119, v20
	v_lshrrev_b32_e32 v58, 17, v24
	v_lshrrev_b16_e32 v72, 1, v128
	v_mul_lo_u16_e32 v16, 50, v54
	v_lshlrev_b16_e32 v20, 4, v57
	v_mul_lo_u16_e32 v24, 50, v58
	v_mul_u32_u24_e32 v28, 0x147b, v72
	v_sub_u16_e32 v16, v116, v16
	v_mov_b32_e32 v29, s15
	v_add_co_u32_e64 v20, s[4:5], s14, v20
	v_sub_u16_e32 v59, v103, v24
	v_lshrrev_b32_e32 v28, 17, v28
	v_and_b32_e32 v55, 0xff, v16
	v_addc_co_u32_e64 v21, s[4:5], 0, v29, s[4:5]
	v_lshlrev_b16_e32 v24, 4, v59
	v_mul_lo_u16_e32 v28, 50, v28
	v_lshlrev_b32_e32 v16, 4, v55
	v_add_co_u32_e64 v24, s[4:5], s14, v24
	v_sub_u16_e32 v60, v128, v28
	global_load_dwordx4 v[16:19], v16, s[14:15] offset:360
	v_addc_co_u32_e64 v25, s[4:5], 0, v29, s[4:5]
	global_load_dwordx4 v[20:23], v[20:21], off offset:360
	v_lshlrev_b16_e32 v28, 4, v60
	v_add_co_u32_e64 v28, s[4:5], s14, v28
	global_load_dwordx4 v[24:27], v[24:25], off offset:360
	v_addc_co_u32_e64 v29, s[4:5], 0, v29, s[4:5]
	global_load_dwordx4 v[28:31], v[28:29], off offset:360
	v_addc_co_u32_e64 v104, s[2:3], 0, 0, s[2:3]
	v_addc_co_u32_e64 v129, s[2:3], 0, 0, vcc
	s_movk_i32 s2, 0x96
	s_waitcnt vmcnt(0) lgkmcnt(0)
	s_barrier
	v_lshlrev_b32_e32 v121, 3, v60
	v_mul_f32_e32 v61, v35, v17
	v_mul_f32_e32 v63, v45, v19
	v_mul_f32_e32 v62, v34, v17
	v_mul_f32_e32 v66, v44, v19
	v_mul_f32_e32 v68, v40, v21
	v_fma_f32 v61, v34, v16, -v61
	v_fma_f32 v44, v44, v18, -v63
	v_mul_f32_e32 v67, v41, v21
	v_mul_f32_e32 v69, v47, v23
	v_fmac_f32_e32 v62, v35, v16
	v_fmac_f32_e32 v66, v45, v18
	;; [unrolled: 1-line block ×3, first 2 shown]
	v_mul_f32_e32 v34, v43, v25
	v_add_f32_e32 v41, v61, v44
	v_mul_f32_e32 v73, v46, v23
	v_fma_f32 v45, v40, v20, -v67
	v_fma_f32 v46, v46, v22, -v69
	v_mul_f32_e32 v63, v42, v25
	v_mul_f32_e32 v35, v49, v27
	v_fma_f32 v69, v42, v24, -v34
	v_mul_f32_e32 v34, v51, v29
	v_add_f32_e32 v40, v36, v61
	v_fma_f32 v36, -0.5, v41, v36
	v_add_f32_e32 v41, v62, v66
	v_fmac_f32_e32 v63, v43, v24
	v_fma_f32 v74, v48, v26, -v35
	v_mul_f32_e32 v75, v50, v29
	v_mul_f32_e32 v35, v53, v31
	v_sub_f32_e32 v42, v62, v66
	v_add_f32_e32 v43, v37, v62
	v_fma_f32 v50, v50, v28, -v34
	v_add_f32_e32 v34, v40, v44
	v_mov_b32_e32 v40, v36
	v_fma_f32 v37, -0.5, v41, v37
	v_fmac_f32_e32 v75, v51, v28
	v_fma_f32 v51, v52, v30, -v35
	v_fmac_f32_e32 v36, 0xbf5db3d7, v42
	v_fmac_f32_e32 v40, 0x3f5db3d7, v42
	v_add_f32_e32 v35, v43, v66
	v_sub_f32_e32 v42, v61, v44
	v_mov_b32_e32 v41, v37
	v_add_f32_e32 v43, v45, v46
	v_fmac_f32_e32 v73, v47, v22
	v_fmac_f32_e32 v41, 0xbf5db3d7, v42
	;; [unrolled: 1-line block ×3, first 2 shown]
	v_add_f32_e32 v42, v38, v45
	v_fma_f32 v38, -0.5, v43, v38
	v_sub_f32_e32 v43, v68, v73
	v_mov_b32_e32 v44, v38
	v_add_f32_e32 v47, v68, v73
	v_fmac_f32_e32 v44, 0x3f5db3d7, v43
	v_fmac_f32_e32 v38, 0xbf5db3d7, v43
	v_add_f32_e32 v43, v39, v68
	v_fmac_f32_e32 v39, -0.5, v47
	v_mul_f32_e32 v67, v48, v27
	v_add_f32_e32 v42, v42, v46
	v_sub_f32_e32 v46, v45, v46
	v_mov_b32_e32 v45, v39
	v_add_f32_e32 v47, v69, v74
	v_fmac_f32_e32 v67, v49, v26
	v_fmac_f32_e32 v45, 0xbf5db3d7, v46
	;; [unrolled: 1-line block ×3, first 2 shown]
	v_add_f32_e32 v46, v32, v69
	v_fma_f32 v32, -0.5, v47, v32
	v_sub_f32_e32 v47, v63, v67
	v_mov_b32_e32 v48, v32
	v_add_f32_e32 v49, v63, v67
	v_fmac_f32_e32 v48, 0x3f5db3d7, v47
	v_fmac_f32_e32 v32, 0xbf5db3d7, v47
	v_add_f32_e32 v47, v33, v63
	v_fmac_f32_e32 v33, -0.5, v49
	v_mul_f32_e32 v76, v52, v31
	v_sub_f32_e32 v52, v69, v74
	v_mov_b32_e32 v49, v33
	v_fmac_f32_e32 v49, 0xbf5db3d7, v52
	v_fmac_f32_e32 v33, 0x3f5db3d7, v52
	v_add_f32_e32 v52, v64, v50
	v_add_f32_e32 v105, v52, v51
	;; [unrolled: 1-line block ×3, first 2 shown]
	v_fmac_f32_e32 v76, v53, v30
	v_fmac_f32_e32 v64, -0.5, v52
	v_sub_f32_e32 v52, v75, v76
	v_mov_b32_e32 v66, v64
	v_fmac_f32_e32 v66, 0x3f5db3d7, v52
	v_fmac_f32_e32 v64, 0xbf5db3d7, v52
	v_add_f32_e32 v52, v65, v75
	v_add_f32_e32 v106, v52, v76
	;; [unrolled: 1-line block ×3, first 2 shown]
	v_fmac_f32_e32 v65, -0.5, v52
	v_add_f32_e32 v47, v47, v67
	v_sub_f32_e32 v50, v50, v51
	v_mov_b32_e32 v67, v65
	v_fmac_f32_e32 v67, 0xbf5db3d7, v50
	v_fmac_f32_e32 v65, 0x3f5db3d7, v50
	v_mul_u32_u24_e32 v50, 0x96, v54
	v_add_lshl_u32 v122, v50, v55, 3
	ds_write2_b64 v122, v[34:35], v[40:41] offset1:50
	ds_write_b64 v122, v[36:37] offset:800
	v_mad_legacy_u16 v34, v56, s2, v57
	v_lshlrev_b32_e32 v123, 3, v34
	v_mad_legacy_u16 v34, v58, s2, v59
	v_add_f32_e32 v43, v43, v73
	v_add_f32_e32 v46, v46, v74
	v_lshlrev_b32_e32 v124, 3, v34
	ds_write2_b64 v123, v[42:43], v[44:45] offset1:50
	ds_write_b64 v123, v[38:39] offset:800
	ds_write2_b64 v124, v[46:47], v[48:49] offset1:50
	ds_write_b64 v124, v[32:33] offset:800
	s_and_saveexec_b64 s[2:3], s[0:1]
	s_cbranch_execz .LBB0_5
; %bb.4:
	v_add_u32_e32 v32, 0x2000, v121
	ds_write2_b64 v32, v[105:106], v[66:67] offset0:176 offset1:226
	ds_write_b64 v121, v[64:65] offset:10400
.LBB0_5:
	s_or_b64 exec, exec, s[2:3]
	v_add_u32_e32 v32, 0x800, v115
	s_waitcnt lgkmcnt(0)
	s_barrier
	ds_read2_b64 v[36:39], v32 offset0:14 offset1:194
	v_add_u32_e32 v32, 0x1c00, v115
	ds_read2_b64 v[60:63], v32 offset0:4 offset1:139
	v_add_u32_e32 v32, 0x1000, v115
	ds_read2_b64 v[52:55], v115 offset1:135
	ds_read2_b64 v[56:59], v32 offset0:73 offset1:208
	ds_read_b64 v[68:69], v115 offset:9360
	s_and_saveexec_b64 s[2:3], s[0:1]
	s_cbranch_execz .LBB0_7
; %bb.6:
	ds_read_b64 v[105:106], v115 offset:3240
	ds_read_b64 v[66:67], v115 offset:6840
	;; [unrolled: 1-line block ×3, first 2 shown]
.LBB0_7:
	s_or_b64 exec, exec, s[2:3]
	v_add_co_u32_e32 v40, vcc, -15, v116
	v_addc_co_u32_e64 v41, s[2:3], 0, -1, vcc
	v_cmp_gt_u16_e32 vcc, 15, v116
	v_mul_u32_u24_e32 v42, 0xda75, v71
	v_cndmask_b32_e32 v71, v41, v70, vcc
	v_cndmask_b32_e32 v70, v40, v119, vcc
	v_lshlrev_b64 v[40:41], 4, v[70:71]
	v_mov_b32_e32 v74, s15
	v_add_co_u32_e32 v40, vcc, s14, v40
	v_lshlrev_b32_e32 v73, 4, v116
	v_mul_u32_u24_e32 v43, 0xda75, v72
	v_lshrrev_b32_e32 v72, 22, v42
	v_addc_co_u32_e32 v41, vcc, v74, v41, vcc
	global_load_dwordx4 v[32:35], v73, s[14:15] offset:1160
	global_load_dwordx4 v[48:51], v[40:41], off offset:1160
	v_mul_lo_u16_e32 v40, 0x96, v72
	v_sub_u16_e32 v71, v103, v40
	v_lshrrev_b32_e32 v42, 22, v43
	v_lshlrev_b16_e32 v40, 4, v71
	v_mul_lo_u16_e32 v41, 0x96, v42
	v_add_co_u32_e32 v40, vcc, s14, v40
	v_sub_u16_e32 v75, v128, v41
	v_addc_co_u32_e32 v41, vcc, 0, v74, vcc
	global_load_dwordx4 v[44:47], v[40:41], off offset:1160
	v_lshlrev_b16_e32 v42, 4, v75
	v_add_co_u32_e32 v40, vcc, s14, v42
	v_addc_co_u32_e32 v41, vcc, 0, v74, vcc
	global_load_dwordx4 v[40:43], v[40:41], off offset:1160
	v_add_co_u32_e32 v111, vcc, s14, v73
	v_addc_co_u32_e32 v112, vcc, 0, v74, vcc
	s_waitcnt vmcnt(0) lgkmcnt(0)
	s_barrier
	v_cmp_lt_u16_e32 vcc, 14, v116
	s_movk_i32 s2, 0x1c2
	v_lshlrev_b32_e32 v125, 3, v75
	v_mul_f32_e32 v73, v39, v33
	v_mul_f32_e32 v74, v38, v33
	;; [unrolled: 1-line block ×4, first 2 shown]
	v_fma_f32 v38, v38, v32, -v73
	v_fmac_f32_e32 v74, v39, v32
	v_fmac_f32_e32 v77, v61, v34
	v_fma_f32 v39, v60, v34, -v76
	v_add_f32_e32 v60, v52, v38
	v_sub_f32_e32 v73, v74, v77
	v_add_f32_e32 v76, v53, v74
	v_add_f32_e32 v74, v74, v77
	;; [unrolled: 1-line block ×3, first 2 shown]
	v_sub_f32_e32 v78, v38, v39
	v_add_f32_e32 v38, v60, v39
	v_add_f32_e32 v39, v76, v77
	v_fma_f32 v53, -0.5, v74, v53
	v_mul_f32_e32 v74, v57, v49
	v_mul_f32_e32 v76, v56, v49
	;; [unrolled: 1-line block ×3, first 2 shown]
	v_fma_f32 v52, -0.5, v61, v52
	v_mul_f32_e32 v79, v62, v51
	v_fma_f32 v74, v56, v48, -v74
	v_fmac_f32_e32 v76, v57, v48
	v_fma_f32 v62, v62, v50, -v77
	v_mul_f32_e32 v57, v69, v47
	v_mov_b32_e32 v60, v52
	v_mul_f32_e32 v56, v59, v45
	v_mul_f32_e32 v107, v68, v47
	v_fma_f32 v68, v68, v46, -v57
	v_add_f32_e32 v57, v74, v62
	v_fmac_f32_e32 v52, 0xbf5db3d7, v73
	v_fmac_f32_e32 v79, v63, v50
	v_mul_f32_e32 v77, v58, v45
	v_fmac_f32_e32 v60, 0x3f5db3d7, v73
	v_fma_f32 v73, v58, v44, -v56
	v_add_f32_e32 v56, v54, v74
	v_fma_f32 v54, -0.5, v57, v54
	v_fmac_f32_e32 v77, v59, v44
	v_sub_f32_e32 v57, v76, v79
	v_mov_b32_e32 v58, v54
	v_add_f32_e32 v59, v76, v79
	v_mul_f32_e32 v63, v67, v41
	v_fmac_f32_e32 v58, 0x3f5db3d7, v57
	v_fmac_f32_e32 v54, 0xbf5db3d7, v57
	v_add_f32_e32 v57, v55, v76
	v_fmac_f32_e32 v55, -0.5, v59
	v_mul_f32_e32 v110, v66, v41
	v_fma_f32 v66, v66, v40, -v63
	v_add_f32_e32 v56, v56, v62
	v_sub_f32_e32 v62, v74, v62
	v_mov_b32_e32 v59, v55
	v_add_f32_e32 v63, v73, v68
	v_mul_f32_e32 v108, v65, v43
	v_mul_f32_e32 v113, v64, v43
	v_fmac_f32_e32 v107, v69, v46
	v_fmac_f32_e32 v59, 0xbf5db3d7, v62
	;; [unrolled: 1-line block ×3, first 2 shown]
	v_add_f32_e32 v62, v36, v73
	v_fma_f32 v36, -0.5, v63, v36
	v_fmac_f32_e32 v110, v67, v40
	v_fma_f32 v67, v64, v42, -v108
	v_fmac_f32_e32 v113, v65, v42
	v_sub_f32_e32 v63, v77, v107
	v_mov_b32_e32 v64, v36
	v_add_f32_e32 v65, v77, v107
	v_fmac_f32_e32 v64, 0x3f5db3d7, v63
	v_fmac_f32_e32 v36, 0xbf5db3d7, v63
	v_add_f32_e32 v63, v37, v77
	v_fmac_f32_e32 v37, -0.5, v65
	v_add_f32_e32 v62, v62, v68
	v_sub_f32_e32 v68, v73, v68
	v_mov_b32_e32 v65, v37
	v_fmac_f32_e32 v65, 0xbf5db3d7, v68
	v_fmac_f32_e32 v37, 0x3f5db3d7, v68
	v_add_f32_e32 v68, v105, v66
	v_add_f32_e32 v63, v63, v107
	;; [unrolled: 1-line block ×4, first 2 shown]
	v_fmac_f32_e32 v105, -0.5, v68
	v_mov_b32_e32 v61, v53
	v_sub_f32_e32 v68, v110, v113
	v_mov_b32_e32 v109, v105
	v_fmac_f32_e32 v61, 0xbf5db3d7, v78
	v_fmac_f32_e32 v109, 0x3f5db3d7, v68
	;; [unrolled: 1-line block ×3, first 2 shown]
	v_add_f32_e32 v68, v106, v110
	v_fmac_f32_e32 v53, 0x3f5db3d7, v78
	v_add_f32_e32 v108, v68, v113
	v_add_f32_e32 v68, v110, v113
	ds_write2_b64 v115, v[38:39], v[60:61] offset1:150
	ds_write_b64 v115, v[52:53] offset:2400
	v_mov_b32_e32 v38, 0x1c2
	v_fmac_f32_e32 v106, -0.5, v68
	v_cndmask_b32_e32 v38, 0, v38, vcc
	v_sub_f32_e32 v66, v66, v67
	v_mov_b32_e32 v110, v106
	v_add_lshl_u32 v126, v70, v38, 3
	v_mad_legacy_u16 v38, v72, s2, v71
	v_add_f32_e32 v57, v57, v79
	v_fmac_f32_e32 v110, 0xbf5db3d7, v66
	v_fmac_f32_e32 v106, 0x3f5db3d7, v66
	v_lshlrev_b32_e32 v127, 3, v38
	ds_write2_b64 v126, v[56:57], v[58:59] offset1:150
	ds_write_b64 v126, v[54:55] offset:2400
	ds_write2_b64 v127, v[62:63], v[64:65] offset1:150
	ds_write_b64 v127, v[36:37] offset:2400
	s_and_saveexec_b64 s[2:3], s[0:1]
	s_cbranch_execz .LBB0_9
; %bb.8:
	v_add_u32_e32 v36, 0x1c00, v125
	ds_write2_b64 v36, v[107:108], v[109:110] offset0:4 offset1:154
	ds_write_b64 v125, v[105:106] offset:9600
.LBB0_9:
	s_or_b64 exec, exec, s[2:3]
	v_add_u32_e32 v36, 0x800, v115
	s_waitcnt lgkmcnt(0)
	s_barrier
	ds_read2_b64 v[68:71], v36 offset0:14 offset1:194
	v_add_u32_e32 v36, 0x1c00, v115
	v_add_u32_e32 v130, 0x1000, v115
	ds_read2_b64 v[64:67], v115 offset1:135
	ds_read2_b64 v[76:79], v36 offset0:4 offset1:139
	ds_read2_b64 v[72:75], v130 offset0:73 offset1:208
	ds_read_b64 v[113:114], v115 offset:9360
	s_and_saveexec_b64 s[2:3], s[0:1]
	s_cbranch_execz .LBB0_11
; %bb.10:
	ds_read_b64 v[107:108], v115 offset:3240
	ds_read_b64 v[109:110], v115 offset:6840
	;; [unrolled: 1-line block ×3, first 2 shown]
.LBB0_11:
	s_or_b64 exec, exec, s[2:3]
	v_lshlrev_b32_e32 v36, 4, v119
	global_load_dwordx4 v[52:55], v[111:112], off offset:3560
	global_load_dwordx4 v[56:59], v36, s[14:15] offset:3560
	v_lshlrev_b64 v[36:37], 4, v[103:104]
	v_mov_b32_e32 v38, s15
	v_add_co_u32_e32 v36, vcc, s14, v36
	v_addc_co_u32_e32 v37, vcc, v38, v37, vcc
	s_movk_i32 s2, 0xffd3
	global_load_dwordx4 v[60:63], v[36:37], off offset:3560
	v_add_co_u32_e32 v36, vcc, s2, v116
	v_addc_co_u32_e64 v37, s[2:3], 0, -1, vcc
	v_cndmask_b32_e64 v36, v36, v128, s[0:1]
	v_cndmask_b32_e64 v37, v37, v129, s[0:1]
	v_lshlrev_b64 v[36:37], 4, v[36:37]
	v_add_co_u32_e32 v36, vcc, s14, v36
	v_addc_co_u32_e32 v37, vcc, v38, v37, vcc
	global_load_dwordx4 v[36:39], v[36:37], off offset:3560
	s_waitcnt vmcnt(3) lgkmcnt(4)
	v_mul_f32_e32 v104, v70, v53
	s_waitcnt lgkmcnt(2)
	v_mul_f32_e32 v111, v77, v55
	v_mul_f32_e32 v112, v76, v55
	;; [unrolled: 1-line block ×3, first 2 shown]
	v_fmac_f32_e32 v104, v71, v52
	v_fma_f32 v71, v76, v54, -v111
	v_fmac_f32_e32 v112, v77, v54
	s_waitcnt vmcnt(2) lgkmcnt(1)
	v_mul_f32_e32 v76, v73, v57
	v_mul_f32_e32 v111, v72, v57
	;; [unrolled: 1-line block ×4, first 2 shown]
	v_fma_f32 v70, v70, v52, -v103
	v_fma_f32 v72, v72, v56, -v76
	v_fmac_f32_e32 v111, v73, v56
	v_fma_f32 v73, v78, v58, -v77
	v_fmac_f32_e32 v119, v79, v58
	v_sub_f32_e32 v79, v104, v112
	v_add_f32_e32 v128, v65, v104
	v_add_f32_e32 v104, v104, v112
	;; [unrolled: 1-line block ×3, first 2 shown]
	v_fma_f32 v104, -0.5, v104, v65
	v_add_f32_e32 v65, v72, v73
	v_add_f32_e32 v76, v64, v70
	v_fma_f32 v103, -0.5, v78, v64
	v_add_f32_e32 v64, v66, v72
	s_waitcnt vmcnt(1)
	v_mul_f32_e32 v132, v75, v61
	s_waitcnt lgkmcnt(0)
	v_mul_f32_e32 v134, v114, v63
	v_fma_f32 v66, -0.5, v65, v66
	v_sub_f32_e32 v70, v70, v71
	v_add_f32_e32 v77, v76, v71
	v_add_f32_e32 v78, v128, v112
	v_sub_f32_e32 v71, v111, v119
	v_mul_f32_e32 v135, v113, v63
	v_mov_b32_e32 v112, v104
	v_add_f32_e32 v128, v64, v73
	v_fma_f32 v64, v74, v60, -v132
	v_fma_f32 v65, v113, v62, -v134
	v_mov_b32_e32 v113, v66
	v_add_f32_e32 v131, v111, v119
	v_mul_f32_e32 v133, v74, v61
	v_fmac_f32_e32 v104, 0x3f5db3d7, v70
	v_fmac_f32_e32 v112, 0xbf5db3d7, v70
	;; [unrolled: 1-line block ×3, first 2 shown]
	v_add_f32_e32 v70, v68, v64
	v_fmac_f32_e32 v113, 0x3f5db3d7, v71
	v_add_f32_e32 v71, v64, v65
	v_add_f32_e32 v76, v67, v111
	v_sub_f32_e32 v72, v72, v73
	v_fmac_f32_e32 v67, -0.5, v131
	v_fmac_f32_e32 v133, v75, v60
	v_fmac_f32_e32 v135, v114, v62
	v_add_f32_e32 v131, v70, v65
	s_waitcnt vmcnt(0)
	v_mul_f32_e32 v70, v110, v37
	v_mul_f32_e32 v73, v106, v39
	v_fma_f32 v68, -0.5, v71, v68
	v_add_f32_e32 v129, v76, v119
	v_mul_f32_e32 v75, v105, v39
	v_fma_f32 v74, v109, v36, -v70
	v_fma_f32 v76, v105, v38, -v73
	v_sub_f32_e32 v70, v133, v135
	v_mov_b32_e32 v105, v68
	v_fmac_f32_e32 v105, 0x3f5db3d7, v70
	v_fmac_f32_e32 v68, 0xbf5db3d7, v70
	v_add_f32_e32 v70, v69, v133
	v_add_f32_e32 v132, v70, v135
	v_add_f32_e32 v70, v133, v135
	v_fmac_f32_e32 v69, -0.5, v70
	v_mov_b32_e32 v114, v67
	v_fmac_f32_e32 v75, v106, v38
	v_sub_f32_e32 v64, v64, v65
	v_mov_b32_e32 v106, v69
	v_fmac_f32_e32 v67, 0x3f5db3d7, v72
	v_fmac_f32_e32 v114, 0xbf5db3d7, v72
	v_mul_f32_e32 v72, v109, v37
	v_fmac_f32_e32 v106, 0xbf5db3d7, v64
	v_fmac_f32_e32 v69, 0x3f5db3d7, v64
	v_add_f32_e32 v64, v74, v76
	v_fmac_f32_e32 v72, v110, v36
	v_fma_f32 v64, -0.5, v64, v107
	v_sub_f32_e32 v65, v72, v75
	v_mov_b32_e32 v70, v64
	v_fmac_f32_e32 v70, 0x3f5db3d7, v65
	v_fmac_f32_e32 v64, 0xbf5db3d7, v65
	v_add_f32_e32 v65, v72, v75
	v_fma_f32 v65, -0.5, v65, v108
	v_mov_b32_e32 v111, v103
	v_sub_f32_e32 v73, v74, v76
	v_mov_b32_e32 v71, v65
	v_fmac_f32_e32 v111, 0x3f5db3d7, v79
	v_fmac_f32_e32 v71, 0xbf5db3d7, v73
	;; [unrolled: 1-line block ×3, first 2 shown]
	v_add_u32_e32 v73, 0x2000, v115
	v_fmac_f32_e32 v103, 0xbf5db3d7, v79
	ds_write_b64 v115, v[111:112] offset:3600
	ds_write_b64 v115, v[103:104] offset:7200
	ds_write2_b64 v115, v[77:78], v[128:129] offset1:135
	ds_write_b64 v115, v[131:132] offset:2160
	ds_write2_b64 v130, v[113:114], v[105:106] offset0:73 offset1:208
	ds_write2_b64 v73, v[66:67], v[68:69] offset0:11 offset1:146
	s_and_saveexec_b64 s[2:3], s[0:1]
	s_cbranch_execz .LBB0_13
; %bb.12:
	v_add_f32_e32 v66, v108, v72
	v_add_f32_e32 v67, v66, v75
	;; [unrolled: 1-line block ×4, first 2 shown]
	ds_write_b64 v115, v[66:67] offset:3240
	ds_write_b64 v115, v[70:71] offset:6840
	ds_write_b64 v115, v[64:65] offset:10440
.LBB0_13:
	s_or_b64 exec, exec, s[2:3]
	v_lshlrev_b32_e32 v66, 3, v116
	v_mov_b32_e32 v67, s13
	v_add_co_u32_e32 v72, vcc, s12, v66
	v_addc_co_u32_e32 v74, vcc, 0, v67, vcc
	v_add_co_u32_e32 v66, vcc, 0x2a30, v72
	v_addc_co_u32_e32 v67, vcc, 0, v74, vcc
	v_add_co_u32_e32 v68, vcc, 0x2000, v72
	v_addc_co_u32_e32 v69, vcc, 0, v74, vcc
	s_movk_i32 s2, 0x3000
	s_waitcnt lgkmcnt(0)
	s_barrier
	global_load_dwordx2 v[78:79], v[68:69], off offset:2608
	global_load_dwordx2 v[128:129], v[66:67], off offset:3240
	;; [unrolled: 1-line block ×4, first 2 shown]
	v_add_co_u32_e32 v66, vcc, s2, v72
	v_addc_co_u32_e32 v67, vcc, 0, v74, vcc
	s_movk_i32 s2, 0x4000
	v_add_co_u32_e32 v68, vcc, s2, v72
	v_addc_co_u32_e32 v69, vcc, 0, v74, vcc
	s_movk_i32 s2, 0x5000
	global_load_dwordx2 v[132:133], v[66:67], off offset:2832
	global_load_dwordx2 v[134:135], v[68:69], off offset:896
	;; [unrolled: 1-line block ×5, first 2 shown]
	v_add_co_u32_e32 v66, vcc, s2, v72
	v_addc_co_u32_e32 v67, vcc, 0, v74, vcc
	global_load_dwordx2 v[66:67], v[66:67], off offset:40
	ds_read2_b64 v[74:77], v115 offset1:135
	v_add_u32_e32 v69, 0x800, v115
	v_add_u32_e32 v68, 0x1000, v115
	;; [unrolled: 1-line block ×7, first 2 shown]
	s_waitcnt vmcnt(9) lgkmcnt(0)
	v_mul_f32_e32 v103, v75, v79
	v_mul_f32_e32 v104, v74, v79
	v_fma_f32 v103, v74, v78, -v103
	v_fmac_f32_e32 v104, v75, v78
	s_waitcnt vmcnt(7)
	v_mul_f32_e32 v105, v77, v108
	ds_write_b64 v115, v[103:104]
	v_mul_f32_e32 v79, v76, v108
	v_fma_f32 v78, v76, v107, -v105
	ds_read2_b64 v[103:106], v69 offset0:14 offset1:149
	v_fmac_f32_e32 v79, v77, v107
	ds_read2_b64 v[74:77], v68 offset0:28 offset1:163
	ds_read2_b64 v[107:110], v119 offset0:42 offset1:177
	ds_read2_b64 v[111:114], v73 offset0:56 offset1:191
	s_waitcnt vmcnt(6) lgkmcnt(3)
	v_mul_f32_e32 v143, v104, v131
	v_mul_f32_e32 v142, v103, v131
	s_waitcnt vmcnt(5) lgkmcnt(2)
	v_mul_f32_e32 v148, v75, v133
	v_mul_f32_e32 v131, v74, v133
	;; [unrolled: 3-line block ×4, first 2 shown]
	v_mul_f32_e32 v151, v106, v129
	v_mul_f32_e32 v137, v105, v129
	s_waitcnt vmcnt(1)
	v_mul_f32_e32 v152, v77, v141
	v_mul_f32_e32 v129, v76, v141
	v_fma_f32 v141, v103, v130, -v143
	v_fmac_f32_e32 v142, v104, v130
	v_fma_f32 v130, v74, v132, -v148
	v_fmac_f32_e32 v131, v75, v132
	s_waitcnt vmcnt(0)
	v_mul_f32_e32 v74, v114, v67
	v_mul_f32_e32 v75, v113, v67
	;; [unrolled: 1-line block ×4, first 2 shown]
	v_fma_f32 v132, v107, v134, -v149
	v_fmac_f32_e32 v133, v108, v134
	v_fma_f32 v134, v111, v136, -v150
	v_fmac_f32_e32 v135, v112, v136
	;; [unrolled: 2-line block ×6, first 2 shown]
	ds_write2_b64 v145, v[78:79], v[141:142] offset0:7 offset1:142
	ds_write2_b64 v146, v[136:137], v[130:131] offset0:21 offset1:156
	;; [unrolled: 1-line block ×4, first 2 shown]
	ds_write_b64 v115, v[74:75] offset:9720
	s_waitcnt lgkmcnt(0)
	s_barrier
	ds_read2_b64 v[74:77], v115 offset1:135
	ds_read2_b64 v[103:106], v69 offset0:14 offset1:149
	ds_read2_b64 v[107:110], v68 offset0:28 offset1:163
	;; [unrolled: 1-line block ×4, first 2 shown]
	s_waitcnt lgkmcnt(0)
	v_add_f32_e32 v66, v74, v103
	v_sub_f32_e32 v133, v103, v107
	v_add_f32_e32 v67, v107, v111
	v_fma_f32 v78, -0.5, v67, v74
	v_sub_f32_e32 v67, v104, v129
	v_mov_b32_e32 v132, v78
	v_fmac_f32_e32 v132, 0xbf737871, v67
	v_sub_f32_e32 v79, v108, v112
	v_sub_f32_e32 v134, v128, v111
	v_fmac_f32_e32 v78, 0x3f737871, v67
	v_fmac_f32_e32 v132, 0xbf167918, v79
	v_add_f32_e32 v133, v133, v134
	v_fmac_f32_e32 v78, 0x3f167918, v79
	v_fmac_f32_e32 v132, 0x3e9e377a, v133
	;; [unrolled: 1-line block ×3, first 2 shown]
	v_add_f32_e32 v133, v103, v128
	v_fma_f32 v74, -0.5, v133, v74
	v_mov_b32_e32 v134, v74
	v_fmac_f32_e32 v134, 0x3f737871, v79
	v_sub_f32_e32 v133, v107, v103
	v_sub_f32_e32 v135, v111, v128
	v_fmac_f32_e32 v74, 0xbf737871, v79
	v_add_f32_e32 v79, v108, v112
	v_add_f32_e32 v66, v66, v107
	v_fmac_f32_e32 v134, 0xbf167918, v67
	v_add_f32_e32 v133, v133, v135
	v_fmac_f32_e32 v74, 0x3f167918, v67
	v_fma_f32 v79, -0.5, v79, v75
	v_add_f32_e32 v66, v66, v111
	v_fmac_f32_e32 v134, 0x3e9e377a, v133
	v_fmac_f32_e32 v74, 0x3e9e377a, v133
	v_sub_f32_e32 v103, v103, v128
	v_mov_b32_e32 v133, v79
	v_add_f32_e32 v66, v66, v128
	v_fmac_f32_e32 v133, 0x3f737871, v103
	v_sub_f32_e32 v107, v107, v111
	v_sub_f32_e32 v111, v104, v108
	;; [unrolled: 1-line block ×3, first 2 shown]
	v_fmac_f32_e32 v79, 0xbf737871, v103
	v_fmac_f32_e32 v133, 0x3f167918, v107
	v_add_f32_e32 v111, v111, v128
	v_fmac_f32_e32 v79, 0xbf167918, v107
	v_fmac_f32_e32 v133, 0x3e9e377a, v111
	;; [unrolled: 1-line block ×3, first 2 shown]
	v_add_f32_e32 v111, v104, v129
	v_add_f32_e32 v67, v75, v104
	v_fma_f32 v75, -0.5, v111, v75
	v_mov_b32_e32 v135, v75
	v_add_f32_e32 v67, v67, v108
	v_fmac_f32_e32 v135, 0xbf737871, v107
	v_sub_f32_e32 v104, v108, v104
	v_sub_f32_e32 v108, v112, v129
	v_fmac_f32_e32 v75, 0x3f737871, v107
	v_fmac_f32_e32 v135, 0x3f167918, v103
	v_add_f32_e32 v104, v104, v108
	v_fmac_f32_e32 v75, 0xbf167918, v103
	v_fmac_f32_e32 v135, 0x3e9e377a, v104
	v_fmac_f32_e32 v75, 0x3e9e377a, v104
	v_add_f32_e32 v104, v109, v113
	v_fma_f32 v107, -0.5, v104, v76
	v_sub_f32_e32 v104, v106, v131
	v_mov_b32_e32 v111, v107
	v_add_f32_e32 v67, v67, v112
	v_fmac_f32_e32 v111, 0xbf737871, v104
	v_sub_f32_e32 v108, v110, v114
	v_sub_f32_e32 v112, v105, v109
	v_sub_f32_e32 v128, v130, v113
	v_fmac_f32_e32 v107, 0x3f737871, v104
	v_fmac_f32_e32 v111, 0xbf167918, v108
	v_add_f32_e32 v112, v112, v128
	v_fmac_f32_e32 v107, 0x3f167918, v108
	v_fmac_f32_e32 v111, 0x3e9e377a, v112
	;; [unrolled: 1-line block ×3, first 2 shown]
	v_add_f32_e32 v112, v105, v130
	v_add_f32_e32 v103, v76, v105
	v_fma_f32 v76, -0.5, v112, v76
	v_mov_b32_e32 v128, v76
	v_add_f32_e32 v67, v67, v129
	v_fmac_f32_e32 v128, 0x3f737871, v108
	v_sub_f32_e32 v112, v109, v105
	v_sub_f32_e32 v129, v113, v130
	v_fmac_f32_e32 v76, 0xbf737871, v108
	v_add_f32_e32 v108, v110, v114
	v_fmac_f32_e32 v128, 0xbf167918, v104
	v_add_f32_e32 v112, v112, v129
	v_fmac_f32_e32 v76, 0x3f167918, v104
	v_fma_f32 v108, -0.5, v108, v77
	v_add_f32_e32 v103, v103, v109
	v_fmac_f32_e32 v128, 0x3e9e377a, v112
	v_fmac_f32_e32 v76, 0x3e9e377a, v112
	v_sub_f32_e32 v105, v105, v130
	v_mov_b32_e32 v112, v108
	v_add_f32_e32 v103, v103, v113
	v_fmac_f32_e32 v112, 0x3f737871, v105
	v_sub_f32_e32 v109, v109, v113
	v_sub_f32_e32 v113, v106, v110
	;; [unrolled: 1-line block ×3, first 2 shown]
	v_fmac_f32_e32 v108, 0xbf737871, v105
	v_fmac_f32_e32 v112, 0x3f167918, v109
	v_add_f32_e32 v113, v113, v129
	v_fmac_f32_e32 v108, 0xbf167918, v109
	v_fmac_f32_e32 v112, 0x3e9e377a, v113
	;; [unrolled: 1-line block ×3, first 2 shown]
	v_add_f32_e32 v113, v106, v131
	v_add_f32_e32 v104, v77, v106
	v_fmac_f32_e32 v77, -0.5, v113
	v_mov_b32_e32 v129, v77
	v_add_f32_e32 v104, v104, v110
	v_fmac_f32_e32 v129, 0xbf737871, v109
	v_sub_f32_e32 v106, v110, v106
	v_sub_f32_e32 v110, v114, v131
	v_fmac_f32_e32 v77, 0x3f737871, v109
	v_add_f32_e32 v104, v104, v114
	v_fmac_f32_e32 v129, 0x3f167918, v105
	v_add_f32_e32 v106, v106, v110
	;; [unrolled: 2-line block ×3, first 2 shown]
	v_add_f32_e32 v104, v104, v131
	v_fmac_f32_e32 v129, 0x3e9e377a, v106
	v_fmac_f32_e32 v77, 0x3e9e377a, v106
	s_barrier
	ds_write2_b64 v117, v[66:67], v[132:133] offset1:1
	ds_write2_b64 v117, v[134:135], v[74:75] offset0:2 offset1:3
	ds_write_b64 v117, v[78:79] offset:32
	ds_write2_b64 v118, v[103:104], v[111:112] offset1:1
	ds_write2_b64 v118, v[128:129], v[76:77] offset0:2 offset1:3
	ds_write_b64 v118, v[107:108] offset:32
	s_waitcnt lgkmcnt(0)
	s_barrier
	ds_read2_b64 v[74:77], v115 offset1:135
	ds_read2_b64 v[103:106], v69 offset0:14 offset1:149
	ds_read2_b64 v[107:110], v68 offset0:28 offset1:163
	;; [unrolled: 1-line block ×4, first 2 shown]
	s_waitcnt lgkmcnt(4)
	v_mul_f32_e32 v66, v13, v77
	v_mul_f32_e32 v13, v13, v76
	v_fmac_f32_e32 v66, v12, v76
	v_fma_f32 v12, v12, v77, -v13
	s_waitcnt lgkmcnt(3)
	v_mul_f32_e32 v13, v15, v104
	v_mul_f32_e32 v15, v15, v103
	v_fmac_f32_e32 v13, v14, v103
	v_fma_f32 v14, v14, v104, -v15
	v_mul_f32_e32 v15, v9, v106
	v_mul_f32_e32 v9, v9, v105
	v_fmac_f32_e32 v15, v8, v105
	v_fma_f32 v8, v8, v106, -v9
	s_waitcnt lgkmcnt(2)
	v_mul_f32_e32 v9, v11, v108
	v_mul_f32_e32 v11, v11, v107
	v_fmac_f32_e32 v9, v10, v107
	v_fma_f32 v10, v10, v108, -v11
	v_mul_f32_e32 v11, v5, v110
	v_mul_f32_e32 v5, v5, v109
	v_fmac_f32_e32 v11, v4, v109
	v_fma_f32 v4, v4, v110, -v5
	s_waitcnt lgkmcnt(1)
	v_mul_f32_e32 v5, v7, v112
	v_mul_f32_e32 v7, v7, v111
	v_fmac_f32_e32 v5, v6, v111
	v_fma_f32 v6, v6, v112, -v7
	v_mul_f32_e32 v7, v1, v114
	v_mul_f32_e32 v1, v1, v113
	v_fmac_f32_e32 v7, v0, v113
	v_fma_f32 v0, v0, v114, -v1
	s_waitcnt lgkmcnt(0)
	v_mul_f32_e32 v1, v3, v129
	v_mul_f32_e32 v3, v3, v128
	v_add_f32_e32 v76, v9, v5
	v_fmac_f32_e32 v1, v2, v128
	v_fma_f32 v2, v2, v129, -v3
	v_fma_f32 v76, -0.5, v76, v74
	v_mul_f32_e32 v3, v102, v131
	v_mul_f32_e32 v67, v102, v130
	v_sub_f32_e32 v77, v14, v2
	v_mov_b32_e32 v78, v76
	v_fmac_f32_e32 v3, v101, v130
	v_fma_f32 v67, v101, v131, -v67
	v_fmac_f32_e32 v78, 0xbf737871, v77
	v_sub_f32_e32 v79, v10, v6
	v_sub_f32_e32 v101, v13, v9
	;; [unrolled: 1-line block ×3, first 2 shown]
	v_fmac_f32_e32 v76, 0x3f737871, v77
	v_fmac_f32_e32 v78, 0xbf167918, v79
	v_add_f32_e32 v101, v101, v102
	v_fmac_f32_e32 v76, 0x3f167918, v79
	v_fmac_f32_e32 v78, 0x3e9e377a, v101
	;; [unrolled: 1-line block ×3, first 2 shown]
	v_add_f32_e32 v101, v13, v1
	v_add_f32_e32 v73, v74, v13
	v_fma_f32 v74, -0.5, v101, v74
	v_mov_b32_e32 v101, v74
	v_add_f32_e32 v73, v73, v9
	v_fmac_f32_e32 v101, 0x3f737871, v79
	v_fmac_f32_e32 v74, 0xbf737871, v79
	v_add_f32_e32 v79, v10, v6
	v_add_f32_e32 v73, v73, v5
	v_sub_f32_e32 v102, v9, v13
	v_sub_f32_e32 v103, v5, v1
	v_fma_f32 v79, -0.5, v79, v75
	v_add_f32_e32 v73, v73, v1
	v_fmac_f32_e32 v101, 0xbf167918, v77
	v_add_f32_e32 v102, v102, v103
	v_fmac_f32_e32 v74, 0x3f167918, v77
	v_sub_f32_e32 v1, v13, v1
	v_mov_b32_e32 v13, v79
	v_fmac_f32_e32 v101, 0x3e9e377a, v102
	v_fmac_f32_e32 v74, 0x3e9e377a, v102
	;; [unrolled: 1-line block ×3, first 2 shown]
	v_sub_f32_e32 v5, v9, v5
	v_sub_f32_e32 v9, v14, v10
	;; [unrolled: 1-line block ×3, first 2 shown]
	v_fmac_f32_e32 v79, 0xbf737871, v1
	v_fmac_f32_e32 v13, 0x3f167918, v5
	v_add_f32_e32 v9, v9, v102
	v_fmac_f32_e32 v79, 0xbf167918, v5
	v_fmac_f32_e32 v13, 0x3e9e377a, v9
	v_fmac_f32_e32 v79, 0x3e9e377a, v9
	v_add_f32_e32 v9, v14, v2
	v_add_f32_e32 v77, v75, v14
	v_fma_f32 v75, -0.5, v9, v75
	v_mov_b32_e32 v102, v75
	v_fmac_f32_e32 v102, 0xbf737871, v5
	v_fmac_f32_e32 v75, 0x3f737871, v5
	;; [unrolled: 1-line block ×4, first 2 shown]
	v_add_f32_e32 v1, v66, v15
	v_add_f32_e32 v77, v77, v10
	;; [unrolled: 1-line block ×6, first 2 shown]
	v_sub_f32_e32 v9, v10, v14
	v_sub_f32_e32 v2, v6, v2
	v_add_f32_e32 v10, v1, v3
	v_add_f32_e32 v1, v11, v7
	;; [unrolled: 1-line block ×3, first 2 shown]
	v_fma_f32 v9, -0.5, v1, v66
	v_sub_f32_e32 v1, v8, v67
	v_mov_b32_e32 v5, v9
	v_fmac_f32_e32 v102, 0x3e9e377a, v2
	v_fmac_f32_e32 v75, 0x3e9e377a, v2
	;; [unrolled: 1-line block ×3, first 2 shown]
	v_sub_f32_e32 v2, v4, v0
	v_sub_f32_e32 v6, v15, v11
	;; [unrolled: 1-line block ×3, first 2 shown]
	v_fmac_f32_e32 v9, 0x3f737871, v1
	v_fmac_f32_e32 v5, 0xbf167918, v2
	v_add_f32_e32 v6, v6, v14
	v_fmac_f32_e32 v9, 0x3f167918, v2
	v_fmac_f32_e32 v5, 0x3e9e377a, v6
	;; [unrolled: 1-line block ×3, first 2 shown]
	v_add_f32_e32 v6, v15, v3
	v_fmac_f32_e32 v66, -0.5, v6
	v_mov_b32_e32 v14, v66
	v_fmac_f32_e32 v14, 0x3f737871, v2
	v_fmac_f32_e32 v66, 0xbf737871, v2
	v_fmac_f32_e32 v14, 0xbf167918, v1
	v_fmac_f32_e32 v66, 0x3f167918, v1
	v_add_f32_e32 v1, v12, v8
	v_add_f32_e32 v1, v1, v4
	v_sub_f32_e32 v6, v11, v15
	v_sub_f32_e32 v103, v7, v3
	v_add_f32_e32 v1, v1, v0
	v_add_f32_e32 v6, v6, v103
	;; [unrolled: 1-line block ×4, first 2 shown]
	v_fma_f32 v104, -0.5, v1, v12
	v_sub_f32_e32 v1, v15, v3
	v_mov_b32_e32 v3, v104
	v_fmac_f32_e32 v14, 0x3e9e377a, v6
	v_fmac_f32_e32 v66, 0x3e9e377a, v6
	;; [unrolled: 1-line block ×3, first 2 shown]
	v_sub_f32_e32 v2, v11, v7
	v_sub_f32_e32 v6, v8, v4
	;; [unrolled: 1-line block ×3, first 2 shown]
	v_fmac_f32_e32 v104, 0xbf737871, v1
	v_fmac_f32_e32 v3, 0x3f167918, v2
	v_add_f32_e32 v6, v6, v7
	v_fmac_f32_e32 v104, 0xbf167918, v2
	v_fmac_f32_e32 v3, 0x3e9e377a, v6
	v_fmac_f32_e32 v104, 0x3e9e377a, v6
	v_add_f32_e32 v6, v8, v67
	v_fmac_f32_e32 v12, -0.5, v6
	v_mov_b32_e32 v7, v12
	v_fmac_f32_e32 v7, 0xbf737871, v2
	v_sub_f32_e32 v4, v4, v8
	v_sub_f32_e32 v0, v0, v67
	v_fmac_f32_e32 v12, 0x3f737871, v2
	v_fmac_f32_e32 v7, 0x3f167918, v1
	v_add_f32_e32 v0, v4, v0
	v_fmac_f32_e32 v12, 0xbf167918, v1
	v_fmac_f32_e32 v7, 0x3e9e377a, v0
	;; [unrolled: 1-line block ×3, first 2 shown]
	v_mul_f32_e32 v11, 0xbf167918, v3
	v_mul_f32_e32 v15, 0xbf737871, v7
	;; [unrolled: 1-line block ×8, first 2 shown]
	v_fmac_f32_e32 v11, 0x3f4f1bbd, v5
	v_fmac_f32_e32 v15, 0x3e9e377a, v14
	;; [unrolled: 1-line block ×8, first 2 shown]
	v_add_f32_e32 v0, v73, v10
	v_add_f32_e32 v2, v78, v11
	;; [unrolled: 1-line block ×10, first 2 shown]
	v_sub_f32_e32 v10, v73, v10
	v_sub_f32_e32 v12, v78, v11
	;; [unrolled: 1-line block ×10, first 2 shown]
	s_barrier
	ds_write2_b64 v120, v[0:1], v[2:3] offset1:5
	ds_write2_b64 v120, v[4:5], v[6:7] offset0:10 offset1:15
	ds_write2_b64 v120, v[8:9], v[10:11] offset0:20 offset1:25
	;; [unrolled: 1-line block ×4, first 2 shown]
	s_waitcnt lgkmcnt(0)
	s_barrier
	ds_read2_b64 v[4:7], v115 offset1:135
	ds_read2_b64 v[0:3], v69 offset0:14 offset1:194
	ds_read2_b64 v[12:15], v72 offset0:4 offset1:139
	;; [unrolled: 1-line block ×3, first 2 shown]
	ds_read_b64 v[68:69], v115 offset:9360
	s_and_saveexec_b64 s[2:3], s[0:1]
	s_cbranch_execz .LBB0_15
; %bb.14:
	ds_read_b64 v[66:67], v115 offset:3240
	ds_read_b64 v[70:71], v115 offset:6840
	;; [unrolled: 1-line block ×3, first 2 shown]
.LBB0_15:
	s_or_b64 exec, exec, s[2:3]
	s_waitcnt lgkmcnt(3)
	v_mul_f32_e32 v72, v17, v3
	v_fmac_f32_e32 v72, v16, v2
	v_mul_f32_e32 v2, v17, v2
	v_fma_f32 v16, v16, v3, -v2
	s_waitcnt lgkmcnt(2)
	v_mul_f32_e32 v17, v19, v13
	v_mul_f32_e32 v2, v19, v12
	v_fmac_f32_e32 v17, v18, v12
	v_fma_f32 v12, v18, v13, -v2
	s_waitcnt lgkmcnt(1)
	v_mul_f32_e32 v2, v21, v8
	v_fma_f32 v18, v20, v9, -v2
	v_mul_f32_e32 v19, v23, v15
	v_mul_f32_e32 v2, v23, v14
	v_fmac_f32_e32 v19, v22, v14
	v_fma_f32 v14, v22, v15, -v2
	v_mul_f32_e32 v2, v25, v10
	v_mul_f32_e32 v13, v21, v9
	;; [unrolled: 1-line block ×3, first 2 shown]
	v_fma_f32 v22, v24, v11, -v2
	s_waitcnt lgkmcnt(0)
	v_mul_f32_e32 v2, v27, v68
	v_fmac_f32_e32 v21, v24, v10
	v_mul_f32_e32 v23, v27, v69
	v_fma_f32 v24, v26, v69, -v2
	v_mul_f32_e32 v2, v29, v70
	v_fmac_f32_e32 v23, v26, v68
	v_mul_f32_e32 v25, v29, v71
	v_fma_f32 v26, v28, v71, -v2
	v_mul_f32_e32 v2, v31, v64
	v_add_f32_e32 v3, v72, v17
	v_fmac_f32_e32 v25, v28, v70
	v_fma_f32 v28, v30, v65, -v2
	v_add_f32_e32 v2, v4, v72
	v_fma_f32 v4, -0.5, v3, v4
	v_fmac_f32_e32 v13, v20, v8
	v_sub_f32_e32 v3, v16, v12
	v_mov_b32_e32 v8, v4
	v_add_f32_e32 v9, v16, v12
	v_fmac_f32_e32 v8, 0xbf5db3d7, v3
	v_fmac_f32_e32 v4, 0x3f5db3d7, v3
	v_add_f32_e32 v3, v5, v16
	v_fma_f32 v5, -0.5, v9, v5
	v_sub_f32_e32 v10, v72, v17
	v_mov_b32_e32 v9, v5
	v_add_f32_e32 v11, v13, v19
	v_fmac_f32_e32 v9, 0x3f5db3d7, v10
	v_fmac_f32_e32 v5, 0xbf5db3d7, v10
	v_add_f32_e32 v10, v6, v13
	v_fma_f32 v6, -0.5, v11, v6
	v_add_f32_e32 v3, v3, v12
	v_sub_f32_e32 v11, v18, v14
	v_mov_b32_e32 v12, v6
	v_fmac_f32_e32 v12, 0xbf5db3d7, v11
	v_fmac_f32_e32 v6, 0x3f5db3d7, v11
	v_add_f32_e32 v11, v7, v18
	v_add_f32_e32 v11, v11, v14
	;; [unrolled: 1-line block ×3, first 2 shown]
	v_fmac_f32_e32 v7, -0.5, v14
	v_sub_f32_e32 v14, v13, v19
	v_mov_b32_e32 v13, v7
	v_add_f32_e32 v15, v21, v23
	v_fmac_f32_e32 v13, 0x3f5db3d7, v14
	v_fmac_f32_e32 v7, 0xbf5db3d7, v14
	v_add_f32_e32 v14, v0, v21
	v_fma_f32 v0, -0.5, v15, v0
	v_mul_f32_e32 v27, v31, v65
	v_sub_f32_e32 v15, v22, v24
	v_mov_b32_e32 v20, v0
	v_add_f32_e32 v16, v22, v24
	v_fmac_f32_e32 v27, v30, v64
	v_fmac_f32_e32 v20, 0xbf5db3d7, v15
	;; [unrolled: 1-line block ×3, first 2 shown]
	v_add_f32_e32 v15, v1, v22
	v_fmac_f32_e32 v1, -0.5, v16
	v_add_f32_e32 v2, v2, v17
	v_sub_f32_e32 v16, v21, v23
	v_mov_b32_e32 v21, v1
	v_add_f32_e32 v17, v25, v27
	v_fmac_f32_e32 v21, 0x3f5db3d7, v16
	v_fmac_f32_e32 v1, 0xbf5db3d7, v16
	v_add_f32_e32 v16, v66, v25
	v_fmac_f32_e32 v66, -0.5, v17
	v_add_f32_e32 v10, v10, v19
	v_sub_f32_e32 v17, v26, v28
	v_mov_b32_e32 v18, v66
	v_add_f32_e32 v19, v26, v28
	v_fmac_f32_e32 v18, 0xbf5db3d7, v17
	v_fmac_f32_e32 v66, 0x3f5db3d7, v17
	v_add_f32_e32 v17, v67, v26
	v_fmac_f32_e32 v67, -0.5, v19
	v_sub_f32_e32 v22, v25, v27
	v_mov_b32_e32 v19, v67
	v_add_f32_e32 v16, v16, v27
	v_add_f32_e32 v17, v17, v28
	v_fmac_f32_e32 v19, 0x3f5db3d7, v22
	v_fmac_f32_e32 v67, 0xbf5db3d7, v22
	v_add_f32_e32 v14, v14, v23
	v_add_f32_e32 v15, v15, v24
	s_barrier
	ds_write2_b64 v122, v[2:3], v[8:9] offset1:50
	ds_write_b64 v122, v[4:5] offset:800
	ds_write2_b64 v123, v[10:11], v[12:13] offset1:50
	ds_write_b64 v123, v[6:7] offset:800
	;; [unrolled: 2-line block ×3, first 2 shown]
	s_and_saveexec_b64 s[2:3], s[0:1]
	s_cbranch_execz .LBB0_17
; %bb.16:
	v_add_u32_e32 v0, 0x2000, v121
	ds_write2_b64 v0, v[16:17], v[18:19] offset0:176 offset1:226
	ds_write_b64 v121, v[66:67] offset:10400
.LBB0_17:
	s_or_b64 exec, exec, s[2:3]
	v_add_u32_e32 v8, 0x1c00, v115
	s_waitcnt lgkmcnt(0)
	s_barrier
	v_add_u32_e32 v0, 0x800, v115
	ds_read2_b64 v[12:15], v8 offset0:4 offset1:139
	v_add_u32_e32 v8, 0x1000, v115
	ds_read2_b64 v[4:7], v115 offset1:135
	ds_read2_b64 v[0:3], v0 offset0:14 offset1:194
	ds_read2_b64 v[8:11], v8 offset0:73 offset1:208
	ds_read_b64 v[20:21], v115 offset:9360
	s_and_saveexec_b64 s[2:3], s[0:1]
	s_cbranch_execz .LBB0_19
; %bb.18:
	ds_read_b64 v[16:17], v115 offset:3240
	ds_read_b64 v[18:19], v115 offset:6840
	ds_read_b64 v[66:67], v115 offset:10440
.LBB0_19:
	s_or_b64 exec, exec, s[2:3]
	s_waitcnt lgkmcnt(2)
	v_mul_f32_e32 v22, v33, v3
	v_fmac_f32_e32 v22, v32, v2
	v_mul_f32_e32 v2, v33, v2
	v_fma_f32 v23, v32, v3, -v2
	v_mul_f32_e32 v24, v35, v13
	v_mul_f32_e32 v2, v35, v12
	v_fmac_f32_e32 v24, v34, v12
	v_fma_f32 v12, v34, v13, -v2
	s_waitcnt lgkmcnt(1)
	v_mul_f32_e32 v2, v49, v8
	v_fma_f32 v25, v48, v9, -v2
	v_mul_f32_e32 v26, v51, v15
	v_mul_f32_e32 v2, v51, v14
	v_fmac_f32_e32 v26, v50, v14
	v_fma_f32 v14, v50, v15, -v2
	v_mul_f32_e32 v2, v45, v10
	v_fma_f32 v28, v44, v11, -v2
	s_waitcnt lgkmcnt(0)
	v_mul_f32_e32 v29, v47, v21
	v_mul_f32_e32 v2, v47, v20
	v_fmac_f32_e32 v29, v46, v20
	v_fma_f32 v20, v46, v21, -v2
	v_mul_f32_e32 v2, v41, v18
	v_fma_f32 v30, v40, v19, -v2
	v_mul_f32_e32 v2, v43, v66
	v_add_f32_e32 v3, v22, v24
	v_mul_f32_e32 v13, v49, v9
	v_fma_f32 v32, v42, v67, -v2
	v_add_f32_e32 v2, v4, v22
	v_fma_f32 v4, -0.5, v3, v4
	v_fmac_f32_e32 v13, v48, v8
	v_sub_f32_e32 v3, v23, v12
	v_mov_b32_e32 v8, v4
	v_add_f32_e32 v9, v23, v12
	v_mul_f32_e32 v27, v45, v11
	v_fmac_f32_e32 v8, 0xbf5db3d7, v3
	v_fmac_f32_e32 v4, 0x3f5db3d7, v3
	v_add_f32_e32 v3, v5, v23
	v_fma_f32 v5, -0.5, v9, v5
	v_fmac_f32_e32 v27, v44, v10
	v_sub_f32_e32 v10, v22, v24
	v_mov_b32_e32 v9, v5
	v_add_f32_e32 v11, v13, v26
	v_fmac_f32_e32 v9, 0x3f5db3d7, v10
	v_fmac_f32_e32 v5, 0xbf5db3d7, v10
	v_add_f32_e32 v10, v6, v13
	v_fma_f32 v6, -0.5, v11, v6
	v_add_f32_e32 v3, v3, v12
	v_sub_f32_e32 v11, v25, v14
	v_mov_b32_e32 v12, v6
	v_fmac_f32_e32 v12, 0xbf5db3d7, v11
	v_fmac_f32_e32 v6, 0x3f5db3d7, v11
	v_add_f32_e32 v11, v7, v25
	v_add_f32_e32 v11, v11, v14
	;; [unrolled: 1-line block ×3, first 2 shown]
	v_fmac_f32_e32 v7, -0.5, v14
	v_sub_f32_e32 v14, v13, v26
	v_mov_b32_e32 v13, v7
	v_add_f32_e32 v15, v27, v29
	v_mul_f32_e32 v21, v41, v19
	v_fmac_f32_e32 v13, 0x3f5db3d7, v14
	v_fmac_f32_e32 v7, 0xbf5db3d7, v14
	v_add_f32_e32 v14, v0, v27
	v_fma_f32 v0, -0.5, v15, v0
	v_fmac_f32_e32 v21, v40, v18
	v_mul_f32_e32 v31, v43, v67
	v_sub_f32_e32 v15, v28, v20
	v_mov_b32_e32 v22, v0
	v_add_f32_e32 v18, v28, v20
	v_fmac_f32_e32 v31, v42, v66
	v_fmac_f32_e32 v22, 0xbf5db3d7, v15
	;; [unrolled: 1-line block ×3, first 2 shown]
	v_add_f32_e32 v15, v1, v28
	v_fmac_f32_e32 v1, -0.5, v18
	v_sub_f32_e32 v18, v27, v29
	v_mov_b32_e32 v23, v1
	v_add_f32_e32 v19, v21, v31
	v_fmac_f32_e32 v23, 0x3f5db3d7, v18
	v_fmac_f32_e32 v1, 0xbf5db3d7, v18
	v_add_f32_e32 v18, v16, v21
	v_fmac_f32_e32 v16, -0.5, v19
	v_add_f32_e32 v2, v2, v24
	v_add_f32_e32 v15, v15, v20
	v_sub_f32_e32 v19, v30, v32
	v_mov_b32_e32 v20, v16
	v_add_f32_e32 v24, v30, v32
	v_fmac_f32_e32 v20, 0xbf5db3d7, v19
	v_fmac_f32_e32 v16, 0x3f5db3d7, v19
	v_add_f32_e32 v19, v17, v30
	v_fmac_f32_e32 v17, -0.5, v24
	v_sub_f32_e32 v24, v21, v31
	v_mov_b32_e32 v21, v17
	v_add_f32_e32 v18, v18, v31
	v_add_f32_e32 v19, v19, v32
	v_fmac_f32_e32 v21, 0x3f5db3d7, v24
	v_fmac_f32_e32 v17, 0xbf5db3d7, v24
	v_add_f32_e32 v10, v10, v26
	v_add_f32_e32 v14, v14, v29
	s_barrier
	ds_write2_b64 v115, v[2:3], v[8:9] offset1:150
	ds_write_b64 v115, v[4:5] offset:2400
	ds_write2_b64 v126, v[10:11], v[12:13] offset1:150
	ds_write_b64 v126, v[6:7] offset:2400
	;; [unrolled: 2-line block ×3, first 2 shown]
	s_and_saveexec_b64 s[2:3], s[0:1]
	s_cbranch_execz .LBB0_21
; %bb.20:
	v_add_u32_e32 v0, 0x1c00, v125
	ds_write2_b64 v0, v[18:19], v[20:21] offset0:4 offset1:154
	ds_write_b64 v125, v[16:17] offset:9600
.LBB0_21:
	s_or_b64 exec, exec, s[2:3]
	v_add_u32_e32 v4, 0x800, v115
	v_add_u32_e32 v8, 0x1c00, v115
	;; [unrolled: 1-line block ×3, first 2 shown]
	s_waitcnt lgkmcnt(0)
	s_barrier
	ds_read2_b64 v[0:3], v115 offset1:135
	ds_read2_b64 v[4:7], v4 offset0:14 offset1:194
	ds_read2_b64 v[12:15], v8 offset0:4 offset1:139
	;; [unrolled: 1-line block ×3, first 2 shown]
	ds_read_b64 v[22:23], v115 offset:9360
	s_and_saveexec_b64 s[2:3], s[0:1]
	s_cbranch_execz .LBB0_23
; %bb.22:
	ds_read_b64 v[18:19], v115 offset:3240
	ds_read_b64 v[20:21], v115 offset:6840
	ds_read_b64 v[16:17], v115 offset:10440
.LBB0_23:
	s_or_b64 exec, exec, s[2:3]
	s_waitcnt lgkmcnt(3)
	v_mul_f32_e32 v25, v53, v7
	v_fmac_f32_e32 v25, v52, v6
	v_mul_f32_e32 v6, v53, v6
	v_fma_f32 v26, v52, v7, -v6
	s_waitcnt lgkmcnt(2)
	v_mul_f32_e32 v27, v55, v13
	v_mul_f32_e32 v6, v55, v12
	v_fmac_f32_e32 v27, v54, v12
	v_fma_f32 v12, v54, v13, -v6
	s_waitcnt lgkmcnt(1)
	v_mul_f32_e32 v6, v57, v8
	v_fma_f32 v28, v56, v9, -v6
	v_mul_f32_e32 v29, v59, v15
	v_mul_f32_e32 v6, v59, v14
	v_fmac_f32_e32 v29, v58, v14
	v_fma_f32 v14, v58, v15, -v6
	v_mul_f32_e32 v6, v61, v10
	v_fma_f32 v31, v60, v11, -v6
	s_waitcnt lgkmcnt(0)
	v_mul_f32_e32 v6, v63, v22
	v_add_f32_e32 v7, v25, v27
	v_mul_f32_e32 v13, v57, v9
	v_mul_f32_e32 v32, v63, v23
	v_fma_f32 v23, v62, v23, -v6
	v_add_f32_e32 v6, v0, v25
	v_fma_f32 v0, -0.5, v7, v0
	v_fmac_f32_e32 v13, v56, v8
	v_sub_f32_e32 v7, v26, v12
	v_mov_b32_e32 v8, v0
	v_add_f32_e32 v9, v26, v12
	v_mul_f32_e32 v30, v61, v11
	v_fmac_f32_e32 v8, 0xbf5db3d7, v7
	v_fmac_f32_e32 v0, 0x3f5db3d7, v7
	v_add_f32_e32 v7, v1, v26
	v_fma_f32 v1, -0.5, v9, v1
	v_fmac_f32_e32 v30, v60, v10
	v_sub_f32_e32 v10, v25, v27
	v_mov_b32_e32 v9, v1
	v_add_f32_e32 v11, v13, v29
	v_fmac_f32_e32 v9, 0x3f5db3d7, v10
	v_fmac_f32_e32 v1, 0xbf5db3d7, v10
	v_add_f32_e32 v10, v2, v13
	v_fma_f32 v2, -0.5, v11, v2
	v_add_f32_e32 v7, v7, v12
	v_sub_f32_e32 v11, v28, v14
	v_mov_b32_e32 v12, v2
	v_fmac_f32_e32 v12, 0xbf5db3d7, v11
	v_fmac_f32_e32 v2, 0x3f5db3d7, v11
	v_add_f32_e32 v11, v3, v28
	v_add_f32_e32 v11, v11, v14
	;; [unrolled: 1-line block ×3, first 2 shown]
	v_fmac_f32_e32 v32, v62, v22
	v_fmac_f32_e32 v3, -0.5, v14
	v_sub_f32_e32 v14, v13, v29
	v_mov_b32_e32 v13, v3
	v_add_f32_e32 v15, v30, v32
	v_fmac_f32_e32 v13, 0x3f5db3d7, v14
	v_fmac_f32_e32 v3, 0xbf5db3d7, v14
	v_add_f32_e32 v14, v4, v30
	v_fma_f32 v4, -0.5, v15, v4
	v_sub_f32_e32 v15, v31, v23
	v_mov_b32_e32 v22, v4
	v_fmac_f32_e32 v22, 0xbf5db3d7, v15
	v_fmac_f32_e32 v4, 0x3f5db3d7, v15
	v_add_f32_e32 v15, v5, v31
	v_add_f32_e32 v15, v15, v23
	v_add_f32_e32 v23, v31, v23
	v_fmac_f32_e32 v5, -0.5, v23
	v_sub_f32_e32 v25, v30, v32
	v_mov_b32_e32 v23, v5
	v_add_f32_e32 v6, v6, v27
	v_add_f32_e32 v10, v10, v29
	v_add_f32_e32 v14, v14, v32
	v_fmac_f32_e32 v23, 0x3f5db3d7, v25
	v_fmac_f32_e32 v5, 0xbf5db3d7, v25
	ds_write_b64 v115, v[8:9] offset:3600
	ds_write_b64 v115, v[0:1] offset:7200
	ds_write2_b64 v115, v[6:7], v[10:11] offset1:135
	ds_write_b64 v115, v[14:15] offset:2160
	ds_write2_b64 v24, v[12:13], v[22:23] offset0:73 offset1:208
	v_add_u32_e32 v0, 0x2000, v115
	ds_write2_b64 v0, v[2:3], v[4:5] offset0:11 offset1:146
	s_and_saveexec_b64 s[2:3], s[0:1]
	s_cbranch_execz .LBB0_25
; %bb.24:
	v_mul_f32_e32 v1, v37, v20
	v_fma_f32 v3, v36, v21, -v1
	v_mul_f32_e32 v1, v39, v16
	v_fma_f32 v5, v38, v17, -v1
	v_add_f32_e32 v1, v3, v5
	v_mul_f32_e32 v7, v37, v21
	v_mul_f32_e32 v8, v39, v17
	v_fma_f32 v2, -0.5, v1, v19
	v_fmac_f32_e32 v7, v36, v20
	v_fmac_f32_e32 v8, v38, v16
	v_sub_f32_e32 v1, v7, v8
	v_mov_b32_e32 v4, v2
	v_fmac_f32_e32 v4, 0xbf5db3d7, v1
	v_fmac_f32_e32 v2, 0x3f5db3d7, v1
	v_add_f32_e32 v1, v19, v3
	v_add_f32_e32 v6, v1, v5
	;; [unrolled: 1-line block ×3, first 2 shown]
	v_fma_f32 v1, -0.5, v1, v18
	v_sub_f32_e32 v5, v3, v5
	v_mov_b32_e32 v3, v1
	v_fmac_f32_e32 v3, 0x3f5db3d7, v5
	v_fmac_f32_e32 v1, 0xbf5db3d7, v5
	v_add_f32_e32 v5, v18, v7
	v_add_f32_e32 v5, v5, v8
	ds_write_b64 v115, v[5:6] offset:3240
	ds_write_b64 v115, v[1:2] offset:6840
	;; [unrolled: 1-line block ×3, first 2 shown]
.LBB0_25:
	s_or_b64 exec, exec, s[2:3]
	s_waitcnt lgkmcnt(0)
	s_barrier
	ds_read2_b64 v[1:4], v115 offset1:135
	v_mad_u64_u32 v[9:10], s[0:1], s10, v80, 0
	s_mov_b32 s0, 0xa0ce5129
	s_mov_b32 s1, 0x3f4845c8
	s_waitcnt lgkmcnt(0)
	v_mul_f32_e32 v5, v90, v2
	v_fmac_f32_e32 v5, v89, v1
	v_cvt_f64_f32_e32 v[5:6], v5
	v_mul_f32_e32 v1, v90, v1
	v_fma_f32 v1, v89, v2, -v1
	v_cvt_f64_f32_e32 v[1:2], v1
	v_mul_f64 v[5:6], v[5:6], s[0:1]
	v_mad_u64_u32 v[11:12], s[2:3], s8, v116, 0
	v_mov_b32_e32 v7, v10
	v_mad_u64_u32 v[7:8], s[2:3], s11, v80, v[7:8]
	v_mul_f64 v[1:2], v[1:2], s[0:1]
	v_cvt_f32_f64_e32 v13, v[5:6]
	v_mov_b32_e32 v5, v12
	v_mad_u64_u32 v[15:16], s[2:3], s9, v116, v[5:6]
	v_add_u32_e32 v5, 0x800, v115
	v_mov_b32_e32 v10, v7
	ds_read2_b64 v[5:8], v5 offset0:14 offset1:149
	v_cvt_f32_f64_e32 v14, v[1:2]
	v_lshlrev_b64 v[1:2], 3, v[9:10]
	v_mov_b32_e32 v12, v15
	v_mov_b32_e32 v15, s7
	s_waitcnt lgkmcnt(0)
	v_mul_f32_e32 v9, v86, v6
	v_fmac_f32_e32 v9, v85, v5
	v_mul_f32_e32 v5, v86, v5
	v_fma_f32 v5, v85, v6, -v5
	v_cvt_f64_f32_e32 v[5:6], v5
	v_cvt_f64_f32_e32 v[9:10], v9
	v_add_co_u32_e32 v17, vcc, s6, v1
	v_mul_f64 v[5:6], v[5:6], s[0:1]
	v_addc_co_u32_e32 v18, vcc, v15, v2, vcc
	v_mul_f64 v[15:16], v[9:10], s[0:1]
	v_add_u32_e32 v9, 0x1000, v115
	v_lshlrev_b64 v[1:2], 3, v[11:12]
	ds_read2_b64 v[9:12], v9 offset0:28 offset1:163
	v_add_co_u32_e32 v1, vcc, v17, v1
	v_addc_co_u32_e32 v2, vcc, v18, v2, vcc
	v_cvt_f32_f64_e32 v18, v[5:6]
	s_waitcnt lgkmcnt(0)
	v_mul_f32_e32 v5, v84, v10
	v_fmac_f32_e32 v5, v83, v9
	v_cvt_f64_f32_e32 v[5:6], v5
	v_mul_f32_e32 v9, v84, v9
	v_fma_f32 v9, v83, v10, -v9
	global_store_dwordx2 v[1:2], v[13:14], off
	v_mul_f64 v[5:6], v[5:6], s[0:1]
	v_cvt_f64_f32_e32 v[9:10], v9
	v_add_u32_e32 v13, 0x1800, v115
	v_cvt_f32_f64_e32 v17, v[15:16]
	ds_read2_b64 v[13:16], v13 offset0:42 offset1:177
	s_mul_i32 s2, s9, 0x870
	s_mul_hi_u32 s3, s8, 0x870
	v_mul_f64 v[9:10], v[9:10], s[0:1]
	s_add_i32 s2, s3, s2
	s_mul_i32 s3, s8, 0x870
	v_mov_b32_e32 v19, s2
	v_add_co_u32_e32 v1, vcc, s3, v1
	v_cvt_f32_f64_e32 v5, v[5:6]
	s_waitcnt lgkmcnt(0)
	v_mul_f32_e32 v6, v82, v14
	v_addc_co_u32_e32 v2, vcc, v2, v19, vcc
	v_fmac_f32_e32 v6, v81, v13
	global_store_dwordx2 v[1:2], v[17:18], off
	v_cvt_f64_f32_e32 v[17:18], v6
	v_mul_f32_e32 v6, v82, v13
	v_fma_f32 v6, v81, v14, -v6
	v_cvt_f64_f32_e32 v[13:14], v6
	v_cvt_f32_f64_e32 v6, v[9:10]
	v_mul_f64 v[9:10], v[17:18], s[0:1]
	v_add_co_u32_e32 v1, vcc, s3, v1
	v_addc_co_u32_e32 v2, vcc, v2, v19, vcc
	ds_read2_b64 v[17:20], v0 offset0:56 offset1:191
	v_mul_f64 v[13:14], v[13:14], s[0:1]
	global_store_dwordx2 v[1:2], v[5:6], off
	v_cvt_f32_f64_e32 v5, v[9:10]
	v_mov_b32_e32 v21, s2
	s_waitcnt lgkmcnt(0)
	v_mul_f32_e32 v0, v92, v18
	v_fmac_f32_e32 v0, v91, v17
	v_cvt_f64_f32_e32 v[9:10], v0
	v_mul_f32_e32 v0, v92, v17
	v_fma_f32 v0, v91, v18, -v0
	v_cvt_f32_f64_e32 v6, v[13:14]
	v_cvt_f64_f32_e32 v[13:14], v0
	v_add_co_u32_e32 v0, vcc, s3, v1
	v_addc_co_u32_e32 v1, vcc, v2, v21, vcc
	v_mul_f32_e32 v2, v94, v4
	v_fmac_f32_e32 v2, v93, v3
	global_store_dwordx2 v[0:1], v[5:6], off
	v_mul_f64 v[5:6], v[9:10], s[0:1]
	v_mul_f64 v[9:10], v[13:14], s[0:1]
	v_cvt_f64_f32_e32 v[13:14], v2
	v_mul_f32_e32 v2, v94, v3
	v_fma_f32 v2, v93, v4, -v2
	v_cvt_f64_f32_e32 v[2:3], v2
	v_add_co_u32_e32 v0, vcc, s3, v0
	v_cvt_f32_f64_e32 v4, v[5:6]
	v_mul_f64 v[2:3], v[2:3], s[0:1]
	v_cvt_f32_f64_e32 v5, v[9:10]
	v_mul_f64 v[9:10], v[13:14], s[0:1]
	v_mov_b32_e32 v6, s2
	v_addc_co_u32_e32 v1, vcc, v1, v6, vcc
	global_store_dwordx2 v[0:1], v[4:5], off
	v_mul_f32_e32 v6, v88, v7
	v_cvt_f32_f64_e32 v5, v[2:3]
	v_mov_b32_e32 v2, 0xffffe278
	v_mad_u64_u32 v[0:1], s[4:5], s8, v2, v[0:1]
	v_mul_f32_e32 v2, v88, v8
	v_fmac_f32_e32 v2, v87, v7
	v_fma_f32 v6, v87, v8, -v6
	v_cvt_f32_f64_e32 v4, v[9:10]
	v_cvt_f64_f32_e32 v[2:3], v2
	v_cvt_f64_f32_e32 v[6:7], v6
	s_mul_i32 s4, s9, 0xffffe278
	s_sub_i32 s4, s4, s8
	v_add_u32_e32 v1, s4, v1
	global_store_dwordx2 v[0:1], v[4:5], off
	v_mul_f64 v[2:3], v[2:3], s[0:1]
	v_mul_f64 v[4:5], v[6:7], s[0:1]
	v_mul_f32_e32 v6, v100, v12
	v_mul_f32_e32 v8, v100, v11
	v_fmac_f32_e32 v6, v99, v11
	v_fma_f32 v8, v99, v12, -v8
	v_cvt_f64_f32_e32 v[6:7], v6
	v_cvt_f64_f32_e32 v[8:9], v8
	v_cvt_f32_f64_e32 v2, v[2:3]
	v_cvt_f32_f64_e32 v3, v[4:5]
	v_mul_f64 v[4:5], v[6:7], s[0:1]
	v_mul_f64 v[6:7], v[8:9], s[0:1]
	v_mov_b32_e32 v8, s2
	v_add_co_u32_e32 v0, vcc, s3, v0
	v_addc_co_u32_e32 v1, vcc, v1, v8, vcc
	global_store_dwordx2 v[0:1], v[2:3], off
	v_cvt_f32_f64_e32 v2, v[4:5]
	v_cvt_f32_f64_e32 v3, v[6:7]
	v_mul_f32_e32 v4, v96, v16
	v_mul_f32_e32 v6, v96, v15
	v_fmac_f32_e32 v4, v95, v15
	v_fma_f32 v6, v95, v16, -v6
	v_cvt_f64_f32_e32 v[4:5], v4
	v_cvt_f64_f32_e32 v[6:7], v6
	v_add_co_u32_e32 v0, vcc, s3, v0
	v_addc_co_u32_e32 v1, vcc, v1, v8, vcc
	global_store_dwordx2 v[0:1], v[2:3], off
	v_mul_f64 v[2:3], v[4:5], s[0:1]
	v_mul_f64 v[4:5], v[6:7], s[0:1]
	v_mul_f32_e32 v6, v98, v20
	v_mul_f32_e32 v8, v98, v19
	v_fmac_f32_e32 v6, v97, v19
	v_fma_f32 v8, v97, v20, -v8
	v_cvt_f64_f32_e32 v[6:7], v6
	v_cvt_f64_f32_e32 v[8:9], v8
	v_cvt_f32_f64_e32 v2, v[2:3]
	v_cvt_f32_f64_e32 v3, v[4:5]
	v_mul_f64 v[4:5], v[6:7], s[0:1]
	v_mul_f64 v[6:7], v[8:9], s[0:1]
	v_mov_b32_e32 v8, s2
	v_add_co_u32_e32 v0, vcc, s3, v0
	v_addc_co_u32_e32 v1, vcc, v1, v8, vcc
	global_store_dwordx2 v[0:1], v[2:3], off
	v_cvt_f32_f64_e32 v2, v[4:5]
	v_cvt_f32_f64_e32 v3, v[6:7]
	v_mov_b32_e32 v4, s2
	v_add_co_u32_e32 v0, vcc, s3, v0
	v_addc_co_u32_e32 v1, vcc, v1, v4, vcc
	global_store_dwordx2 v[0:1], v[2:3], off
.LBB0_26:
	s_endpgm
	.section	.rodata,"a",@progbits
	.p2align	6, 0x0
	.amdhsa_kernel bluestein_single_fwd_len1350_dim1_sp_op_CI_CI
		.amdhsa_group_segment_fixed_size 10800
		.amdhsa_private_segment_fixed_size 0
		.amdhsa_kernarg_size 104
		.amdhsa_user_sgpr_count 6
		.amdhsa_user_sgpr_private_segment_buffer 1
		.amdhsa_user_sgpr_dispatch_ptr 0
		.amdhsa_user_sgpr_queue_ptr 0
		.amdhsa_user_sgpr_kernarg_segment_ptr 1
		.amdhsa_user_sgpr_dispatch_id 0
		.amdhsa_user_sgpr_flat_scratch_init 0
		.amdhsa_user_sgpr_private_segment_size 0
		.amdhsa_uses_dynamic_stack 0
		.amdhsa_system_sgpr_private_segment_wavefront_offset 0
		.amdhsa_system_sgpr_workgroup_id_x 1
		.amdhsa_system_sgpr_workgroup_id_y 0
		.amdhsa_system_sgpr_workgroup_id_z 0
		.amdhsa_system_sgpr_workgroup_info 0
		.amdhsa_system_vgpr_workitem_id 0
		.amdhsa_next_free_vgpr 154
		.amdhsa_next_free_sgpr 20
		.amdhsa_reserve_vcc 1
		.amdhsa_reserve_flat_scratch 0
		.amdhsa_float_round_mode_32 0
		.amdhsa_float_round_mode_16_64 0
		.amdhsa_float_denorm_mode_32 3
		.amdhsa_float_denorm_mode_16_64 3
		.amdhsa_dx10_clamp 1
		.amdhsa_ieee_mode 1
		.amdhsa_fp16_overflow 0
		.amdhsa_exception_fp_ieee_invalid_op 0
		.amdhsa_exception_fp_denorm_src 0
		.amdhsa_exception_fp_ieee_div_zero 0
		.amdhsa_exception_fp_ieee_overflow 0
		.amdhsa_exception_fp_ieee_underflow 0
		.amdhsa_exception_fp_ieee_inexact 0
		.amdhsa_exception_int_div_zero 0
	.end_amdhsa_kernel
	.text
.Lfunc_end0:
	.size	bluestein_single_fwd_len1350_dim1_sp_op_CI_CI, .Lfunc_end0-bluestein_single_fwd_len1350_dim1_sp_op_CI_CI
                                        ; -- End function
	.section	.AMDGPU.csdata,"",@progbits
; Kernel info:
; codeLenInByte = 11340
; NumSgprs: 24
; NumVgprs: 154
; ScratchSize: 0
; MemoryBound: 0
; FloatMode: 240
; IeeeMode: 1
; LDSByteSize: 10800 bytes/workgroup (compile time only)
; SGPRBlocks: 2
; VGPRBlocks: 38
; NumSGPRsForWavesPerEU: 24
; NumVGPRsForWavesPerEU: 154
; Occupancy: 1
; WaveLimiterHint : 1
; COMPUTE_PGM_RSRC2:SCRATCH_EN: 0
; COMPUTE_PGM_RSRC2:USER_SGPR: 6
; COMPUTE_PGM_RSRC2:TRAP_HANDLER: 0
; COMPUTE_PGM_RSRC2:TGID_X_EN: 1
; COMPUTE_PGM_RSRC2:TGID_Y_EN: 0
; COMPUTE_PGM_RSRC2:TGID_Z_EN: 0
; COMPUTE_PGM_RSRC2:TIDIG_COMP_CNT: 0
	.type	__hip_cuid_81575e7455ae6119,@object ; @__hip_cuid_81575e7455ae6119
	.section	.bss,"aw",@nobits
	.globl	__hip_cuid_81575e7455ae6119
__hip_cuid_81575e7455ae6119:
	.byte	0                               ; 0x0
	.size	__hip_cuid_81575e7455ae6119, 1

	.ident	"AMD clang version 19.0.0git (https://github.com/RadeonOpenCompute/llvm-project roc-6.4.0 25133 c7fe45cf4b819c5991fe208aaa96edf142730f1d)"
	.section	".note.GNU-stack","",@progbits
	.addrsig
	.addrsig_sym __hip_cuid_81575e7455ae6119
	.amdgpu_metadata
---
amdhsa.kernels:
  - .args:
      - .actual_access:  read_only
        .address_space:  global
        .offset:         0
        .size:           8
        .value_kind:     global_buffer
      - .actual_access:  read_only
        .address_space:  global
        .offset:         8
        .size:           8
        .value_kind:     global_buffer
      - .actual_access:  read_only
        .address_space:  global
        .offset:         16
        .size:           8
        .value_kind:     global_buffer
      - .actual_access:  read_only
        .address_space:  global
        .offset:         24
        .size:           8
        .value_kind:     global_buffer
      - .actual_access:  read_only
        .address_space:  global
        .offset:         32
        .size:           8
        .value_kind:     global_buffer
      - .offset:         40
        .size:           8
        .value_kind:     by_value
      - .address_space:  global
        .offset:         48
        .size:           8
        .value_kind:     global_buffer
      - .address_space:  global
        .offset:         56
        .size:           8
        .value_kind:     global_buffer
      - .address_space:  global
        .offset:         64
        .size:           8
        .value_kind:     global_buffer
      - .address_space:  global
        .offset:         72
        .size:           8
        .value_kind:     global_buffer
      - .offset:         80
        .size:           4
        .value_kind:     by_value
      - .address_space:  global
        .offset:         88
        .size:           8
        .value_kind:     global_buffer
      - .address_space:  global
        .offset:         96
        .size:           8
        .value_kind:     global_buffer
    .group_segment_fixed_size: 10800
    .kernarg_segment_align: 8
    .kernarg_segment_size: 104
    .language:       OpenCL C
    .language_version:
      - 2
      - 0
    .max_flat_workgroup_size: 135
    .name:           bluestein_single_fwd_len1350_dim1_sp_op_CI_CI
    .private_segment_fixed_size: 0
    .sgpr_count:     24
    .sgpr_spill_count: 0
    .symbol:         bluestein_single_fwd_len1350_dim1_sp_op_CI_CI.kd
    .uniform_work_group_size: 1
    .uses_dynamic_stack: false
    .vgpr_count:     154
    .vgpr_spill_count: 0
    .wavefront_size: 64
amdhsa.target:   amdgcn-amd-amdhsa--gfx906
amdhsa.version:
  - 1
  - 2
...

	.end_amdgpu_metadata
